;; amdgpu-corpus repo=ROCm/rocFFT kind=compiled arch=gfx906 opt=O3
	.text
	.amdgcn_target "amdgcn-amd-amdhsa--gfx906"
	.amdhsa_code_object_version 6
	.protected	fft_rtc_back_len3840_factors_10_6_2_2_2_2_2_2_wgs_128_tpt_128_halfLds_dp_op_CI_CI_unitstride_sbrr_dirReg ; -- Begin function fft_rtc_back_len3840_factors_10_6_2_2_2_2_2_2_wgs_128_tpt_128_halfLds_dp_op_CI_CI_unitstride_sbrr_dirReg
	.globl	fft_rtc_back_len3840_factors_10_6_2_2_2_2_2_2_wgs_128_tpt_128_halfLds_dp_op_CI_CI_unitstride_sbrr_dirReg
	.p2align	8
	.type	fft_rtc_back_len3840_factors_10_6_2_2_2_2_2_2_wgs_128_tpt_128_halfLds_dp_op_CI_CI_unitstride_sbrr_dirReg,@function
fft_rtc_back_len3840_factors_10_6_2_2_2_2_2_2_wgs_128_tpt_128_halfLds_dp_op_CI_CI_unitstride_sbrr_dirReg: ; @fft_rtc_back_len3840_factors_10_6_2_2_2_2_2_2_wgs_128_tpt_128_halfLds_dp_op_CI_CI_unitstride_sbrr_dirReg
; %bb.0:
	s_load_dwordx4 s[12:15], s[4:5], 0x0
	s_load_dwordx4 s[8:11], s[4:5], 0x58
	;; [unrolled: 1-line block ×3, first 2 shown]
	v_mov_b32_e32 v4, 0
	v_mov_b32_e32 v2, 0
	s_waitcnt lgkmcnt(0)
	v_cmp_lt_u64_e64 s[0:1], s[14:15], 2
	v_mov_b32_e32 v6, s6
	v_mov_b32_e32 v7, v4
	s_and_b64 vcc, exec, s[0:1]
	v_mov_b32_e32 v3, 0
	s_cbranch_vccnz .LBB0_8
; %bb.1:
	s_load_dwordx2 s[0:1], s[4:5], 0x10
	s_add_u32 s2, s18, 8
	s_addc_u32 s3, s19, 0
	s_add_u32 s6, s16, 8
	v_mov_b32_e32 v2, 0
	s_addc_u32 s7, s17, 0
	v_mov_b32_e32 v3, 0
	s_waitcnt lgkmcnt(0)
	s_add_u32 s20, s0, 8
	v_mov_b32_e32 v123, v3
	s_addc_u32 s21, s1, 0
	s_mov_b64 s[22:23], 1
	v_mov_b32_e32 v122, v2
.LBB0_2:                                ; =>This Inner Loop Header: Depth=1
	s_load_dwordx2 s[24:25], s[20:21], 0x0
                                        ; implicit-def: $vgpr124_vgpr125
	s_waitcnt lgkmcnt(0)
	v_or_b32_e32 v5, s25, v7
	v_cmp_ne_u64_e32 vcc, 0, v[4:5]
	s_and_saveexec_b64 s[0:1], vcc
	s_xor_b64 s[26:27], exec, s[0:1]
	s_cbranch_execz .LBB0_4
; %bb.3:                                ;   in Loop: Header=BB0_2 Depth=1
	v_cvt_f32_u32_e32 v1, s24
	v_cvt_f32_u32_e32 v5, s25
	s_sub_u32 s0, 0, s24
	s_subb_u32 s1, 0, s25
	v_mac_f32_e32 v1, 0x4f800000, v5
	v_rcp_f32_e32 v1, v1
	v_mul_f32_e32 v1, 0x5f7ffffc, v1
	v_mul_f32_e32 v5, 0x2f800000, v1
	v_trunc_f32_e32 v5, v5
	v_mac_f32_e32 v1, 0xcf800000, v5
	v_cvt_u32_f32_e32 v5, v5
	v_cvt_u32_f32_e32 v1, v1
	v_mul_lo_u32 v8, s0, v5
	v_mul_hi_u32 v9, s0, v1
	v_mul_lo_u32 v11, s1, v1
	v_mul_lo_u32 v10, s0, v1
	v_add_u32_e32 v8, v9, v8
	v_add_u32_e32 v8, v8, v11
	v_mul_hi_u32 v9, v1, v10
	v_mul_lo_u32 v11, v1, v8
	v_mul_hi_u32 v13, v1, v8
	v_mul_hi_u32 v12, v5, v10
	v_mul_lo_u32 v10, v5, v10
	v_mul_hi_u32 v14, v5, v8
	v_add_co_u32_e32 v9, vcc, v9, v11
	v_addc_co_u32_e32 v11, vcc, 0, v13, vcc
	v_mul_lo_u32 v8, v5, v8
	v_add_co_u32_e32 v9, vcc, v9, v10
	v_addc_co_u32_e32 v9, vcc, v11, v12, vcc
	v_addc_co_u32_e32 v10, vcc, 0, v14, vcc
	v_add_co_u32_e32 v8, vcc, v9, v8
	v_addc_co_u32_e32 v9, vcc, 0, v10, vcc
	v_add_co_u32_e32 v1, vcc, v1, v8
	v_addc_co_u32_e32 v5, vcc, v5, v9, vcc
	v_mul_lo_u32 v8, s0, v5
	v_mul_hi_u32 v9, s0, v1
	v_mul_lo_u32 v10, s1, v1
	v_mul_lo_u32 v11, s0, v1
	v_add_u32_e32 v8, v9, v8
	v_add_u32_e32 v8, v8, v10
	v_mul_lo_u32 v12, v1, v8
	v_mul_hi_u32 v13, v1, v11
	v_mul_hi_u32 v14, v1, v8
	;; [unrolled: 1-line block ×3, first 2 shown]
	v_mul_lo_u32 v11, v5, v11
	v_mul_hi_u32 v9, v5, v8
	v_add_co_u32_e32 v12, vcc, v13, v12
	v_addc_co_u32_e32 v13, vcc, 0, v14, vcc
	v_mul_lo_u32 v8, v5, v8
	v_add_co_u32_e32 v11, vcc, v12, v11
	v_addc_co_u32_e32 v10, vcc, v13, v10, vcc
	v_addc_co_u32_e32 v9, vcc, 0, v9, vcc
	v_add_co_u32_e32 v8, vcc, v10, v8
	v_addc_co_u32_e32 v9, vcc, 0, v9, vcc
	v_add_co_u32_e32 v1, vcc, v1, v8
	v_addc_co_u32_e32 v5, vcc, v5, v9, vcc
	v_mad_u64_u32 v[8:9], s[0:1], v6, v5, 0
	v_mul_hi_u32 v10, v6, v1
	v_add_co_u32_e32 v12, vcc, v10, v8
	v_addc_co_u32_e32 v13, vcc, 0, v9, vcc
	v_mad_u64_u32 v[8:9], s[0:1], v7, v1, 0
	v_mad_u64_u32 v[10:11], s[0:1], v7, v5, 0
	v_add_co_u32_e32 v1, vcc, v12, v8
	v_addc_co_u32_e32 v1, vcc, v13, v9, vcc
	v_addc_co_u32_e32 v5, vcc, 0, v11, vcc
	v_add_co_u32_e32 v1, vcc, v1, v10
	v_addc_co_u32_e32 v5, vcc, 0, v5, vcc
	v_mul_lo_u32 v10, s25, v1
	v_mul_lo_u32 v11, s24, v5
	v_mad_u64_u32 v[8:9], s[0:1], s24, v1, 0
	v_add3_u32 v9, v9, v11, v10
	v_sub_u32_e32 v10, v7, v9
	v_mov_b32_e32 v11, s25
	v_sub_co_u32_e32 v8, vcc, v6, v8
	v_subb_co_u32_e64 v10, s[0:1], v10, v11, vcc
	v_subrev_co_u32_e64 v11, s[0:1], s24, v8
	v_subbrev_co_u32_e64 v10, s[0:1], 0, v10, s[0:1]
	v_cmp_le_u32_e64 s[0:1], s25, v10
	v_cndmask_b32_e64 v12, 0, -1, s[0:1]
	v_cmp_le_u32_e64 s[0:1], s24, v11
	v_cndmask_b32_e64 v11, 0, -1, s[0:1]
	v_cmp_eq_u32_e64 s[0:1], s25, v10
	v_cndmask_b32_e64 v10, v12, v11, s[0:1]
	v_add_co_u32_e64 v11, s[0:1], 2, v1
	v_addc_co_u32_e64 v12, s[0:1], 0, v5, s[0:1]
	v_add_co_u32_e64 v13, s[0:1], 1, v1
	v_addc_co_u32_e64 v14, s[0:1], 0, v5, s[0:1]
	v_subb_co_u32_e32 v9, vcc, v7, v9, vcc
	v_cmp_ne_u32_e64 s[0:1], 0, v10
	v_cmp_le_u32_e32 vcc, s25, v9
	v_cndmask_b32_e64 v10, v14, v12, s[0:1]
	v_cndmask_b32_e64 v12, 0, -1, vcc
	v_cmp_le_u32_e32 vcc, s24, v8
	v_cndmask_b32_e64 v8, 0, -1, vcc
	v_cmp_eq_u32_e32 vcc, s25, v9
	v_cndmask_b32_e32 v8, v12, v8, vcc
	v_cmp_ne_u32_e32 vcc, 0, v8
	v_cndmask_b32_e32 v125, v5, v10, vcc
	v_cndmask_b32_e64 v5, v13, v11, s[0:1]
	v_cndmask_b32_e32 v124, v1, v5, vcc
.LBB0_4:                                ;   in Loop: Header=BB0_2 Depth=1
	s_andn2_saveexec_b64 s[0:1], s[26:27]
	s_cbranch_execz .LBB0_6
; %bb.5:                                ;   in Loop: Header=BB0_2 Depth=1
	v_cvt_f32_u32_e32 v1, s24
	s_sub_i32 s26, 0, s24
	v_mov_b32_e32 v125, v4
	v_rcp_iflag_f32_e32 v1, v1
	v_mul_f32_e32 v1, 0x4f7ffffe, v1
	v_cvt_u32_f32_e32 v1, v1
	v_mul_lo_u32 v5, s26, v1
	v_mul_hi_u32 v5, v1, v5
	v_add_u32_e32 v1, v1, v5
	v_mul_hi_u32 v1, v6, v1
	v_mul_lo_u32 v5, v1, s24
	v_add_u32_e32 v8, 1, v1
	v_sub_u32_e32 v5, v6, v5
	v_subrev_u32_e32 v9, s24, v5
	v_cmp_le_u32_e32 vcc, s24, v5
	v_cndmask_b32_e32 v5, v5, v9, vcc
	v_cndmask_b32_e32 v1, v1, v8, vcc
	v_add_u32_e32 v8, 1, v1
	v_cmp_le_u32_e32 vcc, s24, v5
	v_cndmask_b32_e32 v124, v1, v8, vcc
.LBB0_6:                                ;   in Loop: Header=BB0_2 Depth=1
	s_or_b64 exec, exec, s[0:1]
	v_mul_lo_u32 v1, v125, s24
	v_mul_lo_u32 v5, v124, s25
	v_mad_u64_u32 v[8:9], s[0:1], v124, s24, 0
	s_load_dwordx2 s[0:1], s[6:7], 0x0
	s_load_dwordx2 s[24:25], s[2:3], 0x0
	v_add3_u32 v1, v9, v5, v1
	v_sub_co_u32_e32 v5, vcc, v6, v8
	v_subb_co_u32_e32 v1, vcc, v7, v1, vcc
	s_waitcnt lgkmcnt(0)
	v_mul_lo_u32 v6, s0, v1
	v_mul_lo_u32 v7, s1, v5
	v_mad_u64_u32 v[2:3], s[0:1], s0, v5, v[2:3]
	s_add_u32 s22, s22, 1
	s_addc_u32 s23, s23, 0
	s_add_u32 s2, s2, 8
	v_mul_lo_u32 v1, s24, v1
	v_mul_lo_u32 v8, s25, v5
	v_mad_u64_u32 v[122:123], s[0:1], s24, v5, v[122:123]
	v_add3_u32 v3, v7, v3, v6
	s_addc_u32 s3, s3, 0
	v_mov_b32_e32 v5, s14
	s_add_u32 s6, s6, 8
	v_mov_b32_e32 v6, s15
	s_addc_u32 s7, s7, 0
	v_cmp_ge_u64_e32 vcc, s[22:23], v[5:6]
	s_add_u32 s20, s20, 8
	v_add3_u32 v123, v8, v123, v1
	s_addc_u32 s21, s21, 0
	s_cbranch_vccnz .LBB0_9
; %bb.7:                                ;   in Loop: Header=BB0_2 Depth=1
	v_mov_b32_e32 v6, v124
	v_mov_b32_e32 v7, v125
	s_branch .LBB0_2
.LBB0_8:
	v_mov_b32_e32 v123, v3
	v_mov_b32_e32 v125, v7
	;; [unrolled: 1-line block ×4, first 2 shown]
.LBB0_9:
	s_load_dwordx2 s[0:1], s[4:5], 0x28
	s_lshl_b64 s[6:7], s[14:15], 3
	s_add_u32 s2, s18, s6
	s_addc_u32 s3, s19, s7
                                        ; implicit-def: $vgpr140
                                        ; implicit-def: $vgpr134
                                        ; implicit-def: $vgpr149
                                        ; implicit-def: $vgpr131
                                        ; implicit-def: $vgpr145
                                        ; implicit-def: $vgpr147
                                        ; implicit-def: $vgpr143
                                        ; implicit-def: $vgpr128
                                        ; implicit-def: $vgpr133
                                        ; implicit-def: $vgpr126
                                        ; implicit-def: $vgpr138
                                        ; implicit-def: $vgpr129
                                        ; implicit-def: $vgpr136
                                        ; implicit-def: $vgpr142
	s_waitcnt lgkmcnt(0)
	v_cmp_gt_u64_e32 vcc, s[0:1], v[124:125]
	v_cmp_le_u64_e64 s[0:1], s[0:1], v[124:125]
	s_and_saveexec_b64 s[4:5], s[0:1]
	s_xor_b64 s[0:1], exec, s[4:5]
	s_cbranch_execz .LBB0_11
; %bb.10:
	v_mov_b32_e32 v1, 0
	v_or_b32_e32 v140, 0x80, v0
	v_or_b32_e32 v134, 0x100, v0
	;; [unrolled: 1-line block ×13, first 2 shown]
	v_mov_b32_e32 v141, v1
	v_mov_b32_e32 v135, v1
	;; [unrolled: 1-line block ×6, first 2 shown]
	v_or_b32_e32 v142, 0x700, v0
                                        ; implicit-def: $vgpr2_vgpr3
.LBB0_11:
	s_or_saveexec_b64 s[4:5], s[0:1]
                                        ; implicit-def: $vgpr4_vgpr5
                                        ; implicit-def: $vgpr40_vgpr41
                                        ; implicit-def: $vgpr12_vgpr13
                                        ; implicit-def: $vgpr36_vgpr37
                                        ; implicit-def: $vgpr16_vgpr17
                                        ; implicit-def: $vgpr44_vgpr45
                                        ; implicit-def: $vgpr20_vgpr21
                                        ; implicit-def: $vgpr32_vgpr33
                                        ; implicit-def: $vgpr24_vgpr25
                                        ; implicit-def: $vgpr48_vgpr49
                                        ; implicit-def: $vgpr80_vgpr81
                                        ; implicit-def: $vgpr116_vgpr117
                                        ; implicit-def: $vgpr84_vgpr85
                                        ; implicit-def: $vgpr104_vgpr105
                                        ; implicit-def: $vgpr88_vgpr89
                                        ; implicit-def: $vgpr112_vgpr113
                                        ; implicit-def: $vgpr96_vgpr97
                                        ; implicit-def: $vgpr108_vgpr109
                                        ; implicit-def: $vgpr8_vgpr9
                                        ; implicit-def: $vgpr28_vgpr29
                                        ; implicit-def: $vgpr76_vgpr77
                                        ; implicit-def: $vgpr100_vgpr101
                                        ; implicit-def: $vgpr68_vgpr69
                                        ; implicit-def: $vgpr92_vgpr93
                                        ; implicit-def: $vgpr60_vgpr61
                                        ; implicit-def: $vgpr72_vgpr73
                                        ; implicit-def: $vgpr56_vgpr57
                                        ; implicit-def: $vgpr64_vgpr65
                                        ; implicit-def: $vgpr52_vgpr53
                                        ; implicit-def: $vgpr120_vgpr121
	s_xor_b64 exec, exec, s[4:5]
	s_cbranch_execz .LBB0_13
; %bb.12:
	s_add_u32 s0, s16, s6
	s_addc_u32 s1, s17, s7
	s_load_dwordx2 s[0:1], s[0:1], 0x0
	v_lshlrev_b64 v[1:2], 4, v[2:3]
	v_mov_b32_e32 v8, s9
	v_lshlrev_b32_e32 v30, 4, v0
	v_or_b32_e32 v145, 0x180, v0
	s_waitcnt lgkmcnt(0)
	v_mul_lo_u32 v6, s1, v124
	v_mul_lo_u32 v7, s0, v125
	v_mad_u64_u32 v[4:5], s[0:1], s0, v124, 0
	v_or_b32_e32 v143, 0x300, v0
	v_or_b32_e32 v126, 0x480, v0
	v_add3_u32 v5, v5, v7, v6
	v_lshlrev_b64 v[3:4], 4, v[4:5]
	v_lshlrev_b32_e32 v5, 4, v143
	v_add_co_u32_e64 v3, s[0:1], s8, v3
	v_addc_co_u32_e64 v4, s[0:1], v8, v4, s[0:1]
	v_add_co_u32_e64 v24, s[0:1], v3, v1
	v_addc_co_u32_e64 v25, s[0:1], v4, v2, s[0:1]
	v_add_co_u32_e64 v1, s[0:1], v24, v30
	v_addc_co_u32_e64 v2, s[0:1], 0, v25, s[0:1]
	v_lshlrev_b32_e32 v3, 4, v145
	v_add_co_u32_e64 v3, s[0:1], v24, v3
	v_addc_co_u32_e64 v4, s[0:1], 0, v25, s[0:1]
	v_add_co_u32_e64 v5, s[0:1], v24, v5
	v_addc_co_u32_e64 v6, s[0:1], 0, v25, s[0:1]
	global_load_dwordx4 v[50:53], v[3:4], off
	global_load_dwordx4 v[62:65], v[5:6], off
	v_lshlrev_b32_e32 v3, 4, v126
	v_add_co_u32_e64 v3, s[0:1], v24, v3
	v_or_b32_e32 v129, 0x600, v0
	v_addc_co_u32_e64 v4, s[0:1], 0, v25, s[0:1]
	v_lshlrev_b32_e32 v5, 4, v129
	v_add_co_u32_e64 v5, s[0:1], v24, v5
	v_addc_co_u32_e64 v6, s[0:1], 0, v25, s[0:1]
	global_load_dwordx4 v[54:57], v[3:4], off
	global_load_dwordx4 v[70:73], v[5:6], off
	v_or_b32_e32 v3, 0x7800, v30
	v_add_co_u32_e64 v3, s[0:1], v24, v3
	v_addc_co_u32_e64 v4, s[0:1], 0, v25, s[0:1]
	v_or_b32_e32 v5, 0x9000, v30
	v_add_co_u32_e64 v5, s[0:1], v24, v5
	v_addc_co_u32_e64 v6, s[0:1], 0, v25, s[0:1]
	global_load_dwordx4 v[58:61], v[3:4], off
	global_load_dwordx4 v[90:93], v[5:6], off
	v_or_b32_e32 v3, 0xa800, v30
	v_add_co_u32_e64 v3, s[0:1], v24, v3
	v_addc_co_u32_e64 v4, s[0:1], 0, v25, s[0:1]
	v_or_b32_e32 v5, 0xc000, v30
	v_add_co_u32_e64 v5, s[0:1], v24, v5
	v_addc_co_u32_e64 v6, s[0:1], 0, v25, s[0:1]
	global_load_dwordx4 v[66:69], v[3:4], off
	global_load_dwordx4 v[98:101], v[5:6], off
	v_or_b32_e32 v3, 0xd800, v30
	v_add_co_u32_e64 v3, s[0:1], v24, v3
	v_or_b32_e32 v147, 0x200, v0
	v_addc_co_u32_e64 v4, s[0:1], 0, v25, s[0:1]
	global_load_dwordx4 v[118:121], v[1:2], off
	global_load_dwordx4 v[26:29], v[1:2], off offset:2048
	v_lshlrev_b32_e32 v1, 4, v147
	v_add_co_u32_e64 v1, s[0:1], v24, v1
	v_or_b32_e32 v128, 0x380, v0
	v_addc_co_u32_e64 v2, s[0:1], 0, v25, s[0:1]
	global_load_dwordx4 v[74:77], v[3:4], off
	global_load_dwordx4 v[6:9], v[1:2], off
	v_lshlrev_b32_e32 v1, 4, v128
	v_add_co_u32_e64 v1, s[0:1], v24, v1
	v_or_b32_e32 v131, 0x500, v0
	v_addc_co_u32_e64 v2, s[0:1], 0, v25, s[0:1]
	v_lshlrev_b32_e32 v3, 4, v131
	v_add_co_u32_e64 v3, s[0:1], v24, v3
	v_or_b32_e32 v136, 0x680, v0
	v_addc_co_u32_e64 v4, s[0:1], 0, v25, s[0:1]
	v_lshlrev_b32_e32 v5, 4, v136
	v_add_co_u32_e64 v10, s[0:1], v24, v5
	v_addc_co_u32_e64 v11, s[0:1], 0, v25, s[0:1]
	v_or_b32_e32 v5, 0x8000, v30
	v_add_co_u32_e64 v12, s[0:1], v24, v5
	v_addc_co_u32_e64 v13, s[0:1], 0, v25, s[0:1]
	v_or_b32_e32 v5, 0x9800, v30
	;; [unrolled: 3-line block ×5, first 2 shown]
	v_add_co_u32_e64 v20, s[0:1], v24, v5
	v_or_b32_e32 v134, 0x100, v0
	v_addc_co_u32_e64 v21, s[0:1], 0, v25, s[0:1]
	v_lshlrev_b32_e32 v5, 4, v134
	v_add_co_u32_e64 v22, s[0:1], v24, v5
	v_or_b32_e32 v149, 0x280, v0
	v_addc_co_u32_e64 v23, s[0:1], 0, v25, s[0:1]
	v_lshlrev_b32_e32 v5, 4, v149
	;; [unrolled: 4-line block ×5, first 2 shown]
	v_add_co_u32_e64 v40, s[0:1], v24, v5
	v_addc_co_u32_e64 v41, s[0:1], 0, v25, s[0:1]
	v_or_b32_e32 v5, 0x8800, v30
	v_add_co_u32_e64 v139, s[0:1], v24, v5
	v_addc_co_u32_e64 v140, s[0:1], 0, v25, s[0:1]
	v_or_b32_e32 v5, 0xa000, v30
	v_add_co_u32_e64 v150, s[0:1], v24, v5
	v_addc_co_u32_e64 v151, s[0:1], 0, v25, s[0:1]
	v_or_b32_e32 v5, 0xb800, v30
	v_add_co_u32_e64 v152, s[0:1], v24, v5
	v_addc_co_u32_e64 v153, s[0:1], 0, v25, s[0:1]
	v_or_b32_e32 v5, 0xd000, v30
	v_add_co_u32_e64 v154, s[0:1], v24, v5
	v_addc_co_u32_e64 v155, s[0:1], 0, v25, s[0:1]
	v_or_b32_e32 v5, 0xe800, v30
	v_add_co_u32_e64 v156, s[0:1], v24, v5
	v_addc_co_u32_e64 v157, s[0:1], 0, v25, s[0:1]
	global_load_dwordx4 v[106:109], v[1:2], off
	global_load_dwordx4 v[94:97], v[3:4], off
	;; [unrolled: 1-line block ×6, first 2 shown]
                                        ; kill: killed $vgpr14 killed $vgpr15
                                        ; kill: killed $vgpr3 killed $vgpr4
                                        ; kill: killed $vgpr12 killed $vgpr13
                                        ; kill: killed $vgpr1 killed $vgpr2
                                        ; kill: killed $vgpr16 killed $vgpr17
                                        ; kill: killed $vgpr10 killed $vgpr11
	global_load_dwordx4 v[114:117], v[18:19], off
	global_load_dwordx4 v[78:81], v[20:21], off
	;; [unrolled: 1-line block ×3, first 2 shown]
                                        ; kill: killed $vgpr18 killed $vgpr19
                                        ; kill: killed $vgpr20 killed $vgpr21
                                        ; kill: killed $vgpr22 killed $vgpr23
	s_nop 0
	global_load_dwordx4 v[22:25], v[34:35], off
	global_load_dwordx4 v[30:33], v[36:37], off
                                        ; kill: killed $vgpr34 killed $vgpr35
                                        ; kill: killed $vgpr36 killed $vgpr37
	global_load_dwordx4 v[18:21], v[38:39], off
	global_load_dwordx4 v[42:45], v[40:41], off
	global_load_dwordx4 v[14:17], v[139:140], off
	s_nop 0
	global_load_dwordx4 v[34:37], v[150:151], off
	global_load_dwordx4 v[10:13], v[152:153], off
	;; [unrolled: 1-line block ×4, first 2 shown]
	v_mov_b32_e32 v1, 0
	v_mov_b32_e32 v146, v1
	;; [unrolled: 1-line block ×3, first 2 shown]
	v_or_b32_e32 v140, 0x80, v0
	v_mov_b32_e32 v141, v1
	v_mov_b32_e32 v148, v1
	;; [unrolled: 1-line block ×4, first 2 shown]
.LBB0_13:
	s_or_b64 exec, exec, s[4:5]
	s_waitcnt vmcnt(24)
	v_add_f64 v[153:154], v[90:91], v[70:71]
	s_waitcnt vmcnt(21)
	v_add_f64 v[151:152], v[62:63], v[118:119]
	v_add_f64 v[155:156], v[64:65], -v[100:101]
	v_add_f64 v[163:164], v[98:99], v[62:63]
	s_mov_b32 s0, 0x134454ff
	s_mov_b32 s1, 0xbfee6f0e
	;; [unrolled: 1-line block ×4, first 2 shown]
	v_fma_f64 v[153:154], v[153:154], -0.5, v[118:119]
	v_add_f64 v[151:152], v[70:71], v[151:152]
	v_add_f64 v[157:158], v[72:73], -v[92:93]
	v_add_f64 v[159:160], v[62:63], -v[70:71]
	;; [unrolled: 1-line block ×3, first 2 shown]
	v_fma_f64 v[118:119], v[163:164], -0.5, v[118:119]
	s_mov_b32 s8, 0x4755a5e
	s_mov_b32 s9, 0xbfe2cf23
	v_fma_f64 v[165:166], v[155:156], s[0:1], v[153:154]
	v_fma_f64 v[153:154], v[155:156], s[6:7], v[153:154]
	s_mov_b32 s15, 0x3fe2cf23
	s_mov_b32 s14, s8
	v_add_f64 v[151:152], v[90:91], v[151:152]
	v_add_f64 v[159:160], v[161:162], v[159:160]
	;; [unrolled: 1-line block ×3, first 2 shown]
	s_mov_b32 s4, 0x372fe950
	v_fma_f64 v[161:162], v[157:158], s[8:9], v[165:166]
	v_fma_f64 v[153:154], v[157:158], s[14:15], v[153:154]
	;; [unrolled: 1-line block ×3, first 2 shown]
	s_mov_b32 s5, 0x3fd3c6ef
	v_add_f64 v[151:152], v[98:99], v[151:152]
	v_add_f64 v[167:168], v[70:71], -v[62:63]
	v_add_f64 v[169:170], v[90:91], -v[98:99]
	v_fma_f64 v[118:119], v[157:158], s[0:1], v[118:119]
	v_add_f64 v[157:158], v[64:65], v[120:121]
	v_fma_f64 v[163:164], v[163:164], -0.5, v[120:121]
	v_add_f64 v[62:63], v[62:63], -v[98:99]
	v_fma_f64 v[98:99], v[159:160], s[4:5], v[161:162]
	v_fma_f64 v[153:154], v[159:160], s[4:5], v[153:154]
	v_fma_f64 v[159:160], v[155:156], s[8:9], v[165:166]
	v_add_f64 v[165:166], v[100:101], v[64:65]
	v_add_f64 v[161:162], v[169:170], v[167:168]
	v_fma_f64 v[118:119], v[155:156], s[14:15], v[118:119]
	v_add_f64 v[155:156], v[72:73], v[157:158]
	v_fma_f64 v[157:158], v[62:63], s[6:7], v[163:164]
	v_add_f64 v[70:71], v[70:71], -v[90:91]
	v_add_f64 v[90:91], v[64:65], -v[72:73]
	;; [unrolled: 1-line block ×3, first 2 shown]
	v_fma_f64 v[120:121], v[165:166], -0.5, v[120:121]
	v_fma_f64 v[163:164], v[62:63], s[0:1], v[163:164]
	v_fma_f64 v[159:160], v[161:162], s[4:5], v[159:160]
	;; [unrolled: 1-line block ×3, first 2 shown]
	v_add_f64 v[118:119], v[92:93], v[155:156]
	v_fma_f64 v[155:156], v[70:71], s[14:15], v[157:158]
	v_add_f64 v[157:158], v[66:67], v[58:59]
	v_add_f64 v[64:65], v[72:73], -v[64:65]
	v_fma_f64 v[165:166], v[70:71], s[0:1], v[120:121]
	v_add_f64 v[72:73], v[92:93], -v[100:101]
	v_add_f64 v[90:91], v[167:168], v[90:91]
	v_fma_f64 v[163:164], v[70:71], s[8:9], v[163:164]
	v_fma_f64 v[70:71], v[70:71], s[6:7], v[120:121]
	v_add_f64 v[92:93], v[54:55], v[50:51]
	v_fma_f64 v[120:121], v[157:158], -0.5, v[50:51]
	s_waitcnt vmcnt(19)
	v_add_f64 v[157:158], v[56:57], -v[76:77]
	v_add_f64 v[167:168], v[100:101], v[118:119]
	v_fma_f64 v[100:101], v[62:63], s[14:15], v[165:166]
	v_add_f64 v[64:65], v[72:73], v[64:65]
	v_fma_f64 v[155:156], v[90:91], s[4:5], v[155:156]
	v_fma_f64 v[163:164], v[90:91], s[4:5], v[163:164]
	;; [unrolled: 1-line block ×3, first 2 shown]
	v_add_f64 v[70:71], v[58:59], v[92:93]
	v_fma_f64 v[72:73], v[157:158], s[0:1], v[120:121]
	v_add_f64 v[90:91], v[60:61], -v[68:69]
	v_add_f64 v[92:93], v[54:55], -v[58:59]
	;; [unrolled: 1-line block ×3, first 2 shown]
	v_fma_f64 v[165:166], v[64:65], s[4:5], v[100:101]
	v_add_f64 v[100:101], v[74:75], v[54:55]
	v_add_f64 v[169:170], v[68:69], v[60:61]
	v_fma_f64 v[171:172], v[64:65], s[4:5], v[62:63]
	v_add_f64 v[62:63], v[66:67], v[70:71]
	v_fma_f64 v[64:65], v[90:91], s[8:9], v[72:73]
	v_add_f64 v[70:71], v[76:77], v[56:57]
	v_add_f64 v[72:73], v[118:119], v[92:93]
	v_add_f64 v[118:119], v[54:55], -v[74:75]
	v_fma_f64 v[50:51], v[100:101], -0.5, v[50:51]
	v_fma_f64 v[100:101], v[169:170], -0.5, v[52:53]
	v_fma_f64 v[92:93], v[157:158], s[6:7], v[120:121]
	v_add_f64 v[120:121], v[58:59], -v[66:67]
	v_add_f64 v[54:55], v[58:59], -v[54:55]
	v_fma_f64 v[70:71], v[70:71], -0.5, v[52:53]
	v_add_f64 v[173:174], v[56:57], -v[60:61]
	v_add_f64 v[175:176], v[76:77], -v[68:69]
	v_add_f64 v[52:53], v[56:57], v[52:53]
	v_fma_f64 v[58:59], v[118:119], s[6:7], v[100:101]
	v_fma_f64 v[169:170], v[90:91], s[6:7], v[50:51]
	v_add_f64 v[179:180], v[60:61], -v[56:57]
	v_add_f64 v[181:182], v[68:69], -v[76:77]
	v_fma_f64 v[177:178], v[120:121], s[0:1], v[70:71]
	v_add_f64 v[56:57], v[66:67], -v[74:75]
	v_fma_f64 v[50:51], v[90:91], s[0:1], v[50:51]
	v_fma_f64 v[66:67], v[120:121], s[6:7], v[70:71]
	;; [unrolled: 1-line block ×3, first 2 shown]
	v_add_f64 v[70:71], v[175:176], v[173:174]
	v_add_f64 v[52:53], v[60:61], v[52:53]
	v_fma_f64 v[60:61], v[118:119], s[0:1], v[100:101]
	v_add_f64 v[62:63], v[74:75], v[62:63]
	v_fma_f64 v[92:93], v[90:91], s[14:15], v[92:93]
	v_fma_f64 v[74:75], v[118:119], s[14:15], v[177:178]
	v_add_f64 v[90:91], v[181:182], v[179:180]
	v_fma_f64 v[100:101], v[157:158], s[8:9], v[169:170]
	;; [unrolled: 3-line block ×4, first 2 shown]
	v_fma_f64 v[64:65], v[72:73], s[4:5], v[64:65]
	v_fma_f64 v[58:59], v[90:91], s[4:5], v[74:75]
	;; [unrolled: 1-line block ×6, first 2 shown]
	v_mul_f64 v[54:55], v[56:57], s[8:9]
	v_add_f64 v[157:158], v[76:77], v[52:53]
	v_fma_f64 v[52:53], v[70:71], s[4:5], v[60:61]
	s_mov_b32 s16, 0x9b97f4a8
	s_mov_b32 s17, 0x3fe9e377
	v_mul_f64 v[74:75], v[58:59], s[0:1]
	v_mul_f64 v[60:61], v[66:67], s[0:1]
	s_mov_b32 s19, 0xbfd3c6ef
	v_fma_f64 v[100:101], v[64:65], s[16:17], v[54:55]
	s_mov_b32 s18, s4
	v_mul_f64 v[54:55], v[52:53], s[8:9]
	s_mov_b32 s21, 0xbfe9e377
	s_mov_b32 s20, s16
	v_fma_f64 v[120:121], v[72:73], s[4:5], v[74:75]
	v_fma_f64 v[169:170], v[50:51], s[18:19], v[60:61]
	v_mul_f64 v[60:61], v[64:65], s[14:15]
	v_mul_f64 v[64:65], v[72:73], s[6:7]
	s_waitcnt vmcnt(13)
	v_add_f64 v[177:178], v[102:103], v[110:111]
	v_fma_f64 v[173:174], v[68:69], s[20:21], v[54:55]
	v_mul_f64 v[66:67], v[66:67], s[18:19]
	v_mul_f64 v[52:53], v[52:53], s[20:21]
	v_add_f64 v[72:73], v[98:99], v[100:101]
	v_add_f64 v[90:91], v[159:160], v[120:121]
	v_fma_f64 v[175:176], v[56:57], s[16:17], v[60:61]
	v_fma_f64 v[64:65], v[58:59], s[4:5], v[64:65]
	v_add_f64 v[56:57], v[106:107], v[26:27]
	v_add_f64 v[74:75], v[153:154], v[173:174]
	v_add_f64 v[118:119], v[98:99], -v[100:101]
	v_add_f64 v[120:121], v[159:160], -v[120:121]
	v_fma_f64 v[159:160], v[177:178], -0.5, v[26:27]
	s_waitcnt vmcnt(11)
	v_add_f64 v[177:178], v[108:109], -v[116:117]
	v_add_f64 v[100:101], v[153:154], -v[173:174]
	v_add_f64 v[153:154], v[114:115], v[106:107]
	v_add_f64 v[70:71], v[62:63], v[151:152]
	;; [unrolled: 1-line block ×3, first 2 shown]
	v_fma_f64 v[66:67], v[50:51], s[6:7], v[66:67]
	v_fma_f64 v[68:69], v[68:69], s[14:15], v[52:53]
	v_add_f64 v[50:51], v[157:158], v[167:168]
	v_add_f64 v[52:53], v[155:156], v[175:176]
	;; [unrolled: 1-line block ×3, first 2 shown]
	v_add_f64 v[76:77], v[151:152], -v[62:63]
	v_add_f64 v[151:152], v[110:111], v[56:57]
	v_add_f64 v[98:99], v[161:162], -v[169:170]
	v_add_f64 v[56:57], v[167:168], -v[157:158]
	;; [unrolled: 1-line block ×4, first 2 shown]
	v_fma_f64 v[155:156], v[177:178], s[0:1], v[159:160]
	v_add_f64 v[157:158], v[112:113], -v[104:105]
	v_add_f64 v[161:162], v[106:107], -v[110:111]
	;; [unrolled: 1-line block ×3, first 2 shown]
	v_fma_f64 v[159:160], v[177:178], s[6:7], v[159:160]
	v_fma_f64 v[26:27], v[153:154], -0.5, v[26:27]
	v_add_f64 v[54:55], v[163:164], v[68:69]
	v_add_f64 v[151:152], v[102:103], v[151:152]
	v_add_f64 v[68:69], v[163:164], -v[68:69]
	v_fma_f64 v[153:154], v[157:158], s[8:9], v[155:156]
	v_add_f64 v[155:156], v[104:105], v[112:113]
	v_add_f64 v[161:162], v[165:166], v[161:162]
	v_fma_f64 v[159:160], v[157:158], s[14:15], v[159:160]
	v_fma_f64 v[163:164], v[157:158], s[6:7], v[26:27]
	v_add_f64 v[165:166], v[110:111], -v[106:107]
	v_add_f64 v[151:152], v[114:115], v[151:152]
	v_add_f64 v[167:168], v[102:103], -v[114:115]
	v_fma_f64 v[26:27], v[157:158], s[0:1], v[26:27]
	v_add_f64 v[157:158], v[108:109], v[28:29]
	v_fma_f64 v[155:156], v[155:156], -0.5, v[28:29]
	v_add_f64 v[106:107], v[106:107], -v[114:115]
	v_fma_f64 v[114:115], v[161:162], s[4:5], v[153:154]
	v_fma_f64 v[153:154], v[161:162], s[4:5], v[159:160]
	;; [unrolled: 1-line block ×3, first 2 shown]
	v_add_f64 v[163:164], v[116:117], v[108:109]
	v_add_f64 v[161:162], v[167:168], v[165:166]
	v_fma_f64 v[26:27], v[177:178], s[14:15], v[26:27]
	v_add_f64 v[157:158], v[112:113], v[157:158]
	v_fma_f64 v[165:166], v[106:107], s[6:7], v[155:156]
	v_add_f64 v[102:103], v[110:111], -v[102:103]
	v_fma_f64 v[155:156], v[106:107], s[0:1], v[155:156]
	v_add_f64 v[110:111], v[108:109], -v[112:113]
	v_fma_f64 v[28:29], v[163:164], -0.5, v[28:29]
	v_add_f64 v[167:168], v[116:117], -v[104:105]
	v_fma_f64 v[159:160], v[161:162], s[4:5], v[159:160]
	v_fma_f64 v[161:162], v[161:162], s[4:5], v[26:27]
	v_add_f64 v[26:27], v[104:105], v[157:158]
	v_fma_f64 v[157:158], v[102:103], s[14:15], v[165:166]
	v_add_f64 v[163:164], v[82:83], v[86:87]
	v_fma_f64 v[155:156], v[102:103], s[8:9], v[155:156]
	v_fma_f64 v[165:166], v[102:103], s[0:1], v[28:29]
	v_add_f64 v[108:109], v[112:113], -v[108:109]
	v_add_f64 v[104:105], v[104:105], -v[116:117]
	v_fma_f64 v[28:29], v[102:103], s[6:7], v[28:29]
	v_add_f64 v[102:103], v[94:95], v[6:7]
	v_add_f64 v[110:111], v[167:168], v[110:111]
	v_fma_f64 v[112:113], v[163:164], -0.5, v[6:7]
	s_waitcnt vmcnt(10)
	v_add_f64 v[163:164], v[96:97], -v[80:81]
	v_add_f64 v[116:117], v[116:117], v[26:27]
	v_fma_f64 v[26:27], v[106:107], s[14:15], v[165:166]
	v_add_f64 v[104:105], v[104:105], v[108:109]
	v_fma_f64 v[28:29], v[106:107], s[8:9], v[28:29]
	v_add_f64 v[102:103], v[86:87], v[102:103]
	v_add_f64 v[60:61], v[171:172], v[66:67]
	v_add_f64 v[66:67], v[171:172], -v[66:67]
	v_fma_f64 v[157:158], v[110:111], s[4:5], v[157:158]
	v_fma_f64 v[155:156], v[110:111], s[4:5], v[155:156]
	;; [unrolled: 1-line block ×3, first 2 shown]
	v_add_f64 v[108:109], v[88:89], -v[84:85]
	v_add_f64 v[110:111], v[94:95], -v[86:87]
	v_add_f64 v[165:166], v[78:79], -v[82:83]
	v_fma_f64 v[167:168], v[104:105], s[4:5], v[26:27]
	v_add_f64 v[26:27], v[78:79], v[94:95]
	v_add_f64 v[169:170], v[84:85], v[88:89]
	v_fma_f64 v[171:172], v[104:105], s[4:5], v[28:29]
	v_add_f64 v[28:29], v[82:83], v[102:103]
	v_add_f64 v[104:105], v[80:81], v[96:97]
	v_fma_f64 v[102:103], v[108:109], s[8:9], v[106:107]
	v_add_f64 v[106:107], v[165:166], v[110:111]
	v_fma_f64 v[110:111], v[163:164], s[6:7], v[112:113]
	v_fma_f64 v[6:7], v[26:27], -0.5, v[6:7]
	v_fma_f64 v[26:27], v[169:170], -0.5, v[8:9]
	v_add_f64 v[112:113], v[94:95], -v[78:79]
	v_add_f64 v[165:166], v[78:79], v[28:29]
	v_add_f64 v[28:29], v[86:87], -v[82:83]
	v_fma_f64 v[104:105], v[104:105], -0.5, v[8:9]
	v_add_f64 v[86:87], v[86:87], -v[94:95]
	v_add_f64 v[173:174], v[96:97], -v[88:89]
	;; [unrolled: 1-line block ×4, first 2 shown]
	v_fma_f64 v[94:95], v[112:113], s[6:7], v[26:27]
	v_add_f64 v[181:182], v[84:85], -v[80:81]
	v_add_f64 v[8:9], v[96:97], v[8:9]
	v_fma_f64 v[177:178], v[28:29], s[0:1], v[104:105]
	v_fma_f64 v[26:27], v[112:113], s[0:1], v[26:27]
	v_fma_f64 v[169:170], v[108:109], s[6:7], v[6:7]
	v_add_f64 v[78:79], v[82:83], -v[78:79]
	v_add_f64 v[96:97], v[175:176], v[173:174]
	v_fma_f64 v[82:83], v[28:29], s[14:15], v[94:95]
	v_fma_f64 v[94:95], v[28:29], s[6:7], v[104:105]
	v_add_f64 v[173:174], v[181:182], v[179:180]
	v_fma_f64 v[104:105], v[112:113], s[14:15], v[177:178]
	v_add_f64 v[8:9], v[88:89], v[8:9]
	v_fma_f64 v[26:27], v[28:29], s[8:9], v[26:27]
	v_fma_f64 v[110:111], v[108:109], s[14:15], v[110:111]
	;; [unrolled: 1-line block ×6, first 2 shown]
	v_add_f64 v[78:79], v[78:79], v[86:87]
	v_fma_f64 v[82:83], v[173:174], s[4:5], v[104:105]
	v_add_f64 v[8:9], v[84:85], v[8:9]
	v_fma_f64 v[26:27], v[96:97], s[4:5], v[26:27]
	v_fma_f64 v[102:103], v[106:107], s[4:5], v[102:103]
	;; [unrolled: 1-line block ×5, first 2 shown]
	v_mul_f64 v[94:95], v[28:29], s[8:9]
	v_fma_f64 v[88:89], v[78:79], s[4:5], v[88:89]
	v_mul_f64 v[96:97], v[82:83], s[0:1]
	v_add_f64 v[108:109], v[80:81], v[8:9]
	v_mul_f64 v[80:81], v[26:27], s[8:9]
	v_fma_f64 v[78:79], v[78:79], s[4:5], v[6:7]
	s_waitcnt vmcnt(3)
	v_add_f64 v[177:178], v[34:35], v[42:43]
	v_mul_f64 v[8:9], v[86:87], s[0:1]
	v_fma_f64 v[110:111], v[102:103], s[16:17], v[94:95]
	v_mul_f64 v[94:95], v[102:103], s[14:15]
	v_fma_f64 v[112:113], v[88:89], s[4:5], v[96:97]
	v_mul_f64 v[88:89], v[88:89], s[6:7]
	v_mul_f64 v[86:87], v[86:87], s[18:19]
	v_fma_f64 v[169:170], v[84:85], s[20:21], v[80:81]
	v_add_f64 v[6:7], v[165:166], v[151:152]
	v_mul_f64 v[96:97], v[26:27], s[20:21]
	v_fma_f64 v[163:164], v[78:79], s[18:19], v[8:9]
	v_fma_f64 v[173:174], v[28:29], s[16:17], v[94:95]
	v_add_f64 v[26:27], v[159:160], v[112:113]
	v_fma_f64 v[82:83], v[82:83], s[4:5], v[88:89]
	v_fma_f64 v[88:89], v[78:79], s[6:7], v[86:87]
	v_add_f64 v[78:79], v[153:154], v[169:170]
	v_add_f64 v[80:81], v[151:152], -v[165:166]
	v_add_f64 v[86:87], v[159:160], -v[112:113]
	v_add_f64 v[151:152], v[30:31], v[46:47]
	v_fma_f64 v[159:160], v[177:178], -0.5, v[46:47]
	s_waitcnt vmcnt(1)
	v_add_f64 v[165:166], v[32:33], -v[40:41]
	v_add_f64 v[112:113], v[153:154], -v[169:170]
	v_add_f64 v[153:154], v[38:39], v[30:31]
	v_add_f64 v[8:9], v[114:115], v[110:111]
	v_fma_f64 v[175:176], v[84:85], s[14:15], v[96:97]
	v_add_f64 v[28:29], v[161:162], v[163:164]
	v_add_f64 v[94:95], v[108:109], v[116:117]
	;; [unrolled: 1-line block ×4, first 2 shown]
	v_add_f64 v[84:85], v[114:115], -v[110:111]
	v_add_f64 v[110:111], v[161:162], -v[163:164]
	;; [unrolled: 1-line block ×5, first 2 shown]
	v_add_f64 v[82:83], v[42:43], v[151:152]
	v_fma_f64 v[157:158], v[165:166], s[0:1], v[159:160]
	v_add_f64 v[161:162], v[44:45], -v[36:37]
	v_add_f64 v[163:164], v[30:31], -v[42:43]
	;; [unrolled: 1-line block ×3, first 2 shown]
	v_fma_f64 v[159:160], v[165:166], s[6:7], v[159:160]
	v_fma_f64 v[46:47], v[153:154], -0.5, v[46:47]
	v_add_f64 v[104:105], v[171:172], v[88:89]
	v_add_f64 v[151:152], v[171:172], -v[88:89]
	v_add_f64 v[88:89], v[36:37], v[44:45]
	v_add_f64 v[106:107], v[155:156], v[175:176]
	v_add_f64 v[153:154], v[155:156], -v[175:176]
	v_add_f64 v[82:83], v[34:35], v[82:83]
	v_fma_f64 v[155:156], v[161:162], s[8:9], v[157:158]
	v_add_f64 v[157:158], v[167:168], v[163:164]
	v_fma_f64 v[159:160], v[161:162], s[14:15], v[159:160]
	v_fma_f64 v[163:164], v[161:162], s[6:7], v[46:47]
	v_add_f64 v[167:168], v[42:43], -v[30:31]
	v_add_f64 v[169:170], v[34:35], -v[38:39]
	v_add_f64 v[171:172], v[32:33], v[48:49]
	v_fma_f64 v[88:89], v[88:89], -0.5, v[48:49]
	v_add_f64 v[30:31], v[30:31], -v[38:39]
	v_fma_f64 v[46:47], v[161:162], s[0:1], v[46:47]
	v_add_f64 v[38:39], v[38:39], v[82:83]
	v_fma_f64 v[82:83], v[157:158], s[4:5], v[155:156]
	v_fma_f64 v[173:174], v[157:158], s[4:5], v[159:160]
	;; [unrolled: 1-line block ×3, first 2 shown]
	v_add_f64 v[157:158], v[169:170], v[167:168]
	v_add_f64 v[159:160], v[44:45], v[171:172]
	v_fma_f64 v[161:162], v[30:31], s[6:7], v[88:89]
	v_add_f64 v[34:35], v[42:43], -v[34:35]
	v_add_f64 v[42:43], v[32:33], -v[44:45]
	;; [unrolled: 1-line block ×3, first 2 shown]
	v_fma_f64 v[88:89], v[30:31], s[0:1], v[88:89]
	v_add_f64 v[167:168], v[40:41], v[32:33]
	v_fma_f64 v[46:47], v[165:166], s[14:15], v[46:47]
	v_add_f64 v[159:160], v[36:37], v[159:160]
	;; [unrolled: 2-line block ×4, first 2 shown]
	v_fma_f64 v[88:89], v[34:35], s[8:9], v[88:89]
	v_fma_f64 v[48:49], v[167:168], -0.5, v[48:49]
	v_fma_f64 v[46:47], v[157:158], s[4:5], v[46:47]
	v_add_f64 v[157:158], v[18:19], v[22:23]
	v_add_f64 v[167:168], v[40:41], v[159:160]
	v_fma_f64 v[155:156], v[155:156], -0.5, v[22:23]
	s_waitcnt vmcnt(0)
	v_add_f64 v[159:160], v[20:21], -v[4:5]
	v_fma_f64 v[169:170], v[42:43], s[4:5], v[161:162]
	v_fma_f64 v[42:43], v[42:43], s[4:5], v[88:89]
	;; [unrolled: 1-line block ×3, first 2 shown]
	v_add_f64 v[36:37], v[36:37], -v[40:41]
	v_fma_f64 v[34:35], v[34:35], s[6:7], v[48:49]
	v_add_f64 v[40:41], v[14:15], v[157:158]
	v_add_f64 v[161:162], v[18:19], -v[14:15]
	v_add_f64 v[163:164], v[2:3], -v[10:11]
	v_add_f64 v[32:33], v[44:45], -v[32:33]
	v_fma_f64 v[44:45], v[159:160], s[0:1], v[155:156]
	v_add_f64 v[48:49], v[16:17], -v[12:13]
	v_add_f64 v[157:158], v[2:3], v[18:19]
	v_add_f64 v[171:172], v[12:13], v[16:17]
	v_fma_f64 v[88:89], v[30:31], s[14:15], v[88:89]
	v_fma_f64 v[30:31], v[30:31], s[8:9], v[34:35]
	v_add_f64 v[34:35], v[10:11], v[40:41]
	v_add_f64 v[40:41], v[163:164], v[161:162]
	;; [unrolled: 1-line block ×4, first 2 shown]
	v_fma_f64 v[22:23], v[157:158], -0.5, v[22:23]
	v_fma_f64 v[36:37], v[48:49], s[8:9], v[44:45]
	v_fma_f64 v[44:45], v[171:172], -0.5, v[24:25]
	v_add_f64 v[157:158], v[18:19], -v[2:3]
	v_add_f64 v[171:172], v[14:15], -v[10:11]
	v_add_f64 v[14:15], v[14:15], -v[18:19]
	v_fma_f64 v[161:162], v[161:162], -0.5, v[24:25]
	v_fma_f64 v[88:89], v[32:33], s[4:5], v[88:89]
	v_fma_f64 v[30:31], v[32:33], s[4:5], v[30:31]
	v_add_f64 v[32:33], v[2:3], v[34:35]
	v_fma_f64 v[34:35], v[40:41], s[4:5], v[36:37]
	v_fma_f64 v[36:37], v[157:158], s[6:7], v[44:45]
	v_add_f64 v[18:19], v[20:21], -v[16:17]
	v_add_f64 v[175:176], v[4:5], -v[12:13]
	v_add_f64 v[24:25], v[20:21], v[24:25]
	v_fma_f64 v[177:178], v[171:172], s[0:1], v[161:162]
	v_add_f64 v[20:21], v[16:17], -v[20:21]
	v_add_f64 v[179:180], v[12:13], -v[4:5]
	v_fma_f64 v[161:162], v[171:172], s[6:7], v[161:162]
	v_fma_f64 v[163:164], v[48:49], s[6:7], v[22:23]
	;; [unrolled: 1-line block ×4, first 2 shown]
	v_add_f64 v[18:19], v[175:176], v[18:19]
	v_add_f64 v[2:3], v[10:11], -v[2:3]
	v_fma_f64 v[155:156], v[159:160], s[6:7], v[155:156]
	v_fma_f64 v[10:11], v[48:49], s[0:1], v[22:23]
	v_add_f64 v[16:17], v[16:17], v[24:25]
	v_fma_f64 v[22:23], v[157:158], s[14:15], v[177:178]
	v_add_f64 v[20:21], v[179:180], v[20:21]
	v_fma_f64 v[24:25], v[157:158], s[8:9], v[161:162]
	v_fma_f64 v[163:164], v[159:160], s[8:9], v[163:164]
	;; [unrolled: 1-line block ×4, first 2 shown]
	v_add_f64 v[2:3], v[2:3], v[14:15]
	v_fma_f64 v[155:156], v[48:49], s[14:15], v[155:156]
	v_fma_f64 v[10:11], v[159:160], s[14:15], v[10:11]
	v_add_f64 v[12:13], v[12:13], v[16:17]
	v_fma_f64 v[16:17], v[20:21], s[4:5], v[22:23]
	v_fma_f64 v[20:21], v[20:21], s[4:5], v[24:25]
	;; [unrolled: 1-line block ×3, first 2 shown]
	v_mul_f64 v[22:23], v[36:37], s[8:9]
	v_fma_f64 v[24:25], v[2:3], s[4:5], v[163:164]
	v_fma_f64 v[14:15], v[40:41], s[4:5], v[155:156]
	;; [unrolled: 1-line block ×3, first 2 shown]
	v_add_f64 v[40:41], v[4:5], v[12:13]
	v_mul_f64 v[4:5], v[16:17], s[0:1]
	v_mul_f64 v[12:13], v[20:21], s[0:1]
	;; [unrolled: 1-line block ×3, first 2 shown]
	v_fma_f64 v[22:23], v[34:35], s[16:17], v[22:23]
	v_mul_f64 v[34:35], v[34:35], s[14:15]
	v_mul_f64 v[48:49], v[24:25], s[6:7]
	;; [unrolled: 1-line block ×4, first 2 shown]
	v_fma_f64 v[24:25], v[24:25], s[4:5], v[4:5]
	v_fma_f64 v[171:172], v[10:11], s[18:19], v[12:13]
	;; [unrolled: 1-line block ×3, first 2 shown]
	v_add_f64 v[2:3], v[32:33], v[38:39]
	v_fma_f64 v[34:35], v[36:37], s[16:17], v[34:35]
	v_fma_f64 v[36:37], v[16:17], s[4:5], v[48:49]
	v_fma_f64 v[48:49], v[10:11], s[6:7], v[20:21]
	v_add_f64 v[4:5], v[82:83], v[22:23]
	v_fma_f64 v[175:176], v[14:15], s[14:15], v[18:19]
	v_add_f64 v[10:11], v[165:166], v[24:25]
	v_add_f64 v[12:13], v[46:47], v[171:172]
	;; [unrolled: 1-line block ×3, first 2 shown]
	v_add_f64 v[16:17], v[38:39], -v[32:33]
	v_add_f64 v[18:19], v[82:83], -v[22:23]
	v_add_f64 v[161:162], v[30:31], v[48:49]
	v_add_f64 v[22:23], v[46:47], -v[171:172]
	v_add_f64 v[171:172], v[30:31], -v[48:49]
	v_mul_u32_u24_e32 v30, 10, v0
	v_add_f64 v[20:21], v[165:166], -v[24:25]
	v_lshl_add_u32 v127, v30, 3, 0
	v_mul_i32_i24_e32 v30, 10, v140
	v_add_f64 v[24:25], v[173:174], -v[44:45]
	v_lshl_add_u32 v83, v30, 3, 0
	s_load_dwordx2 s[2:3], s[2:3], 0x0
	ds_write_b128 v127, v[70:73]
	ds_write_b128 v127, v[90:93] offset:16
	ds_write_b128 v127, v[74:77] offset:32
	;; [unrolled: 1-line block ×4, first 2 shown]
	ds_write_b128 v83, v[6:9]
	ds_write_b128 v83, v[26:29] offset:16
	ds_write_b128 v83, v[78:81] offset:32
	ds_write_b128 v83, v[84:87] offset:48
	ds_write_b128 v83, v[110:113] offset:64
	v_mul_i32_i24_e32 v6, 10, v134
	v_lshl_add_u32 v84, v6, 3, 0
	s_movk_i32 s0, 0xffb8
	v_mad_i32_i24 v85, v0, s0, v127
	v_lshl_add_u32 v86, v149, 3, 0
	v_mad_i32_i24 v81, v140, s0, v83
	v_mad_i32_i24 v82, v134, s0, v84
	s_movk_i32 s0, 0xcd
	v_add_f64 v[155:156], v[40:41], v[167:168]
	v_add_f64 v[157:158], v[169:170], v[34:35]
	;; [unrolled: 1-line block ×4, first 2 shown]
	v_add_f64 v[165:166], v[167:168], -v[40:41]
	v_add_f64 v[167:168], v[169:170], -v[34:35]
	v_add_f64 v[169:170], v[88:89], -v[36:37]
	v_add_f64 v[173:174], v[42:43], -v[175:176]
	ds_write_b128 v84, v[2:5]
	ds_write_b128 v84, v[10:13] offset:16
	ds_write_b128 v84, v[14:17] offset:32
	;; [unrolled: 1-line block ×4, first 2 shown]
	s_waitcnt lgkmcnt(0)
	s_barrier
	ds_read2st64_b64 v[2:5], v85 offset1:12
	v_lshl_add_u32 v87, v131, 3, 0
	ds_read2st64_b64 v[18:21], v85 offset0:28 offset1:30
	ds_read2st64_b64 v[46:49], v85 offset0:40 offset1:42
	;; [unrolled: 1-line block ×6, first 2 shown]
	ds_read_b64 v[76:77], v81
	ds_read_b64 v[74:75], v82
	ds_read2st64_b64 v[34:37], v85 offset0:14 offset1:16
	ds_read2st64_b64 v[30:33], v85 offset0:24 offset1:26
	;; [unrolled: 1-line block ×3, first 2 shown]
	v_lshl_add_u32 v88, v145, 3, 0
	ds_read2st64_b64 v[14:17], v85 offset0:36 offset1:38
	ds_read2st64_b64 v[6:9], v85 offset0:56 offset1:58
	v_lshl_add_u32 v89, v147, 3, 0
	ds_read_b64 v[78:79], v86
	ds_read_b64 v[227:228], v87
	;; [unrolled: 1-line block ×4, first 2 shown]
	s_waitcnt lgkmcnt(0)
	s_barrier
	ds_write_b128 v127, v[50:53]
	ds_write_b128 v127, v[58:61] offset:16
	ds_write_b128 v127, v[54:57] offset:32
	ds_write_b128 v127, v[62:65] offset:48
	ds_write_b128 v127, v[66:69] offset:64
	ds_write_b128 v83, v[94:97]
	ds_write_b128 v83, v[102:105] offset:16
	ds_write_b128 v83, v[106:109] offset:32
	ds_write_b128 v83, v[114:117] offset:48
	ds_write_b128 v83, v[151:154] offset:64
	ds_write_b128 v84, v[155:158]
	ds_write_b128 v84, v[159:162] offset:16
	ds_write_b128 v84, v[163:166] offset:32
	ds_write_b128 v84, v[167:170] offset:48
	ds_write_b128 v84, v[171:174] offset:64
	v_mul_lo_u16_sdwa v50, v0, s0 dst_sel:DWORD dst_unused:UNUSED_PAD src0_sel:BYTE_0 src1_sel:DWORD
	v_lshrrev_b16_e32 v54, 11, v50
	v_mul_lo_u16_e32 v50, 10, v54
	v_sub_u16_e32 v55, v0, v50
	v_mov_b32_e32 v50, 5
	v_mul_u32_u24_sdwa v51, v55, v50 dst_sel:DWORD dst_unused:UNUSED_PAD src0_sel:BYTE_0 src1_sel:DWORD
	v_lshlrev_b32_e32 v51, 4, v51
	s_waitcnt lgkmcnt(0)
	s_barrier
	global_load_dwordx4 v[64:67], v51, s[12:13]
	global_load_dwordx4 v[90:93], v51, s[12:13] offset:16
	global_load_dwordx4 v[94:97], v51, s[12:13] offset:32
	;; [unrolled: 1-line block ×3, first 2 shown]
	v_mul_lo_u16_sdwa v52, v140, s0 dst_sel:DWORD dst_unused:UNUSED_PAD src0_sel:BYTE_0 src1_sel:DWORD
	v_lshrrev_b16_e32 v56, 11, v52
	v_mul_lo_u16_e32 v52, 10, v56
	v_sub_u16_e32 v57, v140, v52
	global_load_dwordx4 v[102:105], v51, s[12:13] offset:64
	v_mul_u32_u24_sdwa v50, v57, v50 dst_sel:DWORD dst_unused:UNUSED_PAD src0_sel:BYTE_0 src1_sel:DWORD
	v_lshlrev_b32_e32 v50, 4, v50
	global_load_dwordx4 v[106:109], v50, s[12:13] offset:48
	global_load_dwordx4 v[110:113], v50, s[12:13]
	global_load_dwordx4 v[114:117], v50, s[12:13] offset:32
	global_load_dwordx4 v[118:121], v50, s[12:13] offset:16
	s_mov_b32 s0, 0xcccd
	v_mul_u32_u24_sdwa v51, v134, s0 dst_sel:DWORD dst_unused:UNUSED_PAD src0_sel:WORD_0 src1_sel:DWORD
	v_lshrrev_b32_e32 v58, 19, v51
	v_mul_lo_u16_e32 v51, 10, v58
	v_sub_u16_e32 v59, v134, v51
	v_mul_u32_u24_e32 v51, 5, v59
	v_lshlrev_b32_e32 v51, 4, v51
	global_load_dwordx4 v[151:154], v51, s[12:13] offset:32
	global_load_dwordx4 v[155:158], v50, s[12:13] offset:64
	;; [unrolled: 1-line block ×3, first 2 shown]
	ds_read2st64_b64 v[163:166], v85 offset1:12
	global_load_dwordx4 v[167:170], v51, s[12:13] offset:16
	global_load_dwordx4 v[171:174], v51, s[12:13]
	v_mul_u32_u24_sdwa v60, v145, s0 dst_sel:DWORD dst_unused:UNUSED_PAD src0_sel:WORD_0 src1_sel:DWORD
	v_lshrrev_b32_e32 v60, 19, v60
	v_mul_lo_u16_e32 v61, 10, v60
	v_sub_u16_e32 v61, v145, v61
	v_mul_u32_u24_e32 v62, 5, v61
	v_lshlrev_b32_e32 v62, 4, v62
	ds_read2st64_b64 v[175:178], v85 offset0:28 offset1:30
	ds_read2st64_b64 v[179:182], v85 offset0:40 offset1:42
	ds_read2st64_b64 v[183:186], v85 offset0:48 offset1:50
	global_load_dwordx4 v[187:190], v51, s[12:13] offset:64
	ds_read2st64_b64 v[191:194], v85 offset0:18 offset1:22
	ds_read2st64_b64 v[195:198], v85 offset0:32 offset1:34
	;; [unrolled: 1-line block ×3, first 2 shown]
	ds_read_b64 v[229:230], v86
	ds_read_b64 v[231:232], v87
	;; [unrolled: 1-line block ×4, first 2 shown]
	global_load_dwordx4 v[203:206], v62, s[12:13]
	global_load_dwordx4 v[207:210], v62, s[12:13] offset:32
	global_load_dwordx4 v[211:214], v62, s[12:13] offset:16
	s_mov_b32 s4, 0xe8584caa
	s_mov_b32 s5, 0xbfebb67a
	;; [unrolled: 1-line block ×3, first 2 shown]
	s_movk_i32 s6, 0x1000
	s_waitcnt vmcnt(17) lgkmcnt(3)
	v_mul_f64 v[233:234], v[229:230], v[66:67]
	v_mul_f64 v[235:236], v[78:79], v[66:67]
	global_load_dwordx4 v[66:69], v62, s[12:13] offset:48
	global_load_dwordx4 v[215:218], v62, s[12:13] offset:64
	v_mul_u32_u24_sdwa v62, v147, s0 dst_sel:DWORD dst_unused:UNUSED_PAD src0_sel:WORD_0 src1_sel:DWORD
	v_lshrrev_b32_e32 v62, 19, v62
	v_mul_lo_u16_e32 v63, 10, v62
	v_sub_u16_e32 v63, v147, v63
	v_mul_u32_u24_e32 v80, 5, v63
	s_waitcnt vmcnt(18) lgkmcnt(2)
	v_mul_f64 v[237:238], v[231:232], v[92:93]
	v_mul_f64 v[92:93], v[227:228], v[92:93]
	v_lshlrev_b32_e32 v80, 4, v80
	global_load_dwordx4 v[219:222], v80, s[12:13] offset:16
	global_load_dwordx4 v[223:226], v80, s[12:13]
	s_waitcnt vmcnt(19)
	v_mul_f64 v[239:240], v[177:178], v[96:97]
	ds_read_b64 v[241:242], v81
	ds_read_b64 v[243:244], v82
	v_fma_f64 v[78:79], v[78:79], v[64:65], v[233:234]
	v_fma_f64 v[64:65], v[229:230], v[64:65], -v[235:236]
	v_fma_f64 v[233:234], v[227:228], v[90:91], v[237:238]
	v_mul_f64 v[96:97], v[20:21], v[96:97]
	v_fma_f64 v[231:232], v[231:232], v[90:91], -v[92:93]
	global_load_dwordx4 v[90:93], v80, s[12:13] offset:48
	global_load_dwordx4 v[227:230], v80, s[12:13] offset:32
	v_fma_f64 v[20:21], v[20:21], v[94:95], v[239:240]
	s_waitcnt vmcnt(20)
	v_mul_f64 v[235:236], v[179:180], v[100:101]
	v_mul_f64 v[100:101], v[46:47], v[100:101]
	s_waitcnt vmcnt(19)
	v_mul_f64 v[237:238], v[185:186], v[104:105]
	v_mul_f64 v[104:105], v[12:13], v[104:105]
	v_fma_f64 v[177:178], v[177:178], v[94:95], -v[96:97]
	global_load_dwordx4 v[94:97], v80, s[12:13] offset:64
	s_waitcnt vmcnt(19)
	v_mul_f64 v[239:240], v[181:182], v[108:109]
	s_mov_b32 s0, s4
	v_fma_f64 v[235:236], v[46:47], v[98:99], v[235:236]
	v_fma_f64 v[179:180], v[179:180], v[98:99], -v[100:101]
	v_mul_f64 v[98:99], v[48:49], v[108:109]
	v_fma_f64 v[12:13], v[12:13], v[102:103], v[237:238]
	s_waitcnt vmcnt(18)
	v_mul_f64 v[100:101], v[165:166], v[112:113]
	v_fma_f64 v[185:186], v[185:186], v[102:103], -v[104:105]
	v_mul_f64 v[102:103], v[4:5], v[112:113]
	v_fma_f64 v[112:113], v[48:49], v[106:107], v[239:240]
	s_waitcnt vmcnt(16)
	v_mul_f64 v[104:105], v[193:194], v[120:121]
	v_mul_f64 v[108:109], v[195:196], v[116:117]
	v_fma_f64 v[181:182], v[181:182], v[106:107], -v[98:99]
	v_mul_f64 v[106:107], v[24:25], v[120:121]
	ds_read2st64_b64 v[46:49], v85 offset0:14 offset1:16
	v_fma_f64 v[4:5], v[4:5], v[110:111], v[100:101]
	v_fma_f64 v[110:111], v[165:166], v[110:111], -v[102:103]
	s_waitcnt vmcnt(15)
	v_mul_f64 v[102:103], v[197:198], v[153:154]
	v_fma_f64 v[24:25], v[24:25], v[118:119], v[104:105]
	v_fma_f64 v[120:121], v[42:43], v[114:115], v[108:109]
	s_waitcnt vmcnt(14)
	v_mul_f64 v[108:109], v[38:39], v[157:158]
	v_fma_f64 v[118:119], v[193:194], v[118:119], -v[106:107]
	v_mul_f64 v[106:107], v[199:200], v[157:158]
	s_waitcnt vmcnt(11)
	v_mul_f64 v[157:158], v[34:35], v[173:174]
	v_mul_f64 v[104:105], v[44:45], v[153:154]
	s_waitcnt lgkmcnt(0)
	v_mul_f64 v[153:154], v[46:47], v[173:174]
	v_mul_f64 v[116:117], v[42:43], v[116:117]
	ds_read2st64_b64 v[98:101], v85 offset0:24 offset1:26
	s_waitcnt vmcnt(10)
	v_mul_f64 v[165:166], v[201:202], v[189:190]
	v_mul_f64 v[173:174], v[40:41], v[189:190]
	v_fma_f64 v[38:39], v[38:39], v[155:156], v[106:107]
	v_fma_f64 v[46:47], v[46:47], v[171:172], -v[157:158]
	v_mul_f64 v[157:158], v[30:31], v[169:170]
	v_fma_f64 v[34:35], v[34:35], v[171:172], v[153:154]
	s_waitcnt lgkmcnt(0)
	v_mul_f64 v[153:154], v[98:99], v[169:170]
	v_fma_f64 v[114:115], v[195:196], v[114:115], -v[116:117]
	v_fma_f64 v[116:117], v[44:45], v[151:152], v[102:103]
	ds_read2st64_b64 v[42:45], v85 offset0:44 offset1:46
	v_fma_f64 v[40:41], v[40:41], v[187:188], v[165:166]
	v_fma_f64 v[169:170], v[201:202], v[187:188], -v[173:174]
	v_fma_f64 v[98:99], v[98:99], v[167:168], -v[157:158]
	s_waitcnt vmcnt(7)
	v_mul_f64 v[157:158], v[32:33], v[213:214]
	s_waitcnt lgkmcnt(0)
	v_mul_f64 v[165:166], v[42:43], v[161:162]
	v_mul_f64 v[161:162], v[26:27], v[161:162]
	;; [unrolled: 1-line block ×3, first 2 shown]
	v_fma_f64 v[151:152], v[197:198], v[151:152], -v[104:105]
	ds_read2st64_b64 v[102:105], v85 offset0:36 offset1:38
	v_fma_f64 v[30:31], v[30:31], v[167:168], v[153:154]
	v_mul_f64 v[153:154], v[48:49], v[205:206]
	v_fma_f64 v[100:101], v[100:101], v[211:212], -v[157:158]
	v_fma_f64 v[26:27], v[26:27], v[159:160], v[165:166]
	v_fma_f64 v[42:43], v[42:43], v[159:160], -v[161:162]
	s_waitcnt lgkmcnt(0)
	v_mul_f64 v[159:160], v[102:103], v[209:210]
	v_fma_f64 v[155:156], v[199:200], v[155:156], -v[108:109]
	s_waitcnt vmcnt(6)
	v_mul_f64 v[157:158], v[44:45], v[68:69]
	v_mul_f64 v[68:69], v[28:29], v[68:69]
	s_waitcnt vmcnt(5)
	v_mul_f64 v[161:162], v[6:7], v[217:218]
	ds_read2st64_b64 v[106:109], v85 offset0:56 offset1:58
	v_mul_f64 v[171:172], v[36:37], v[205:206]
	v_fma_f64 v[36:37], v[36:37], v[203:204], v[153:154]
	v_mul_f64 v[153:154], v[14:15], v[209:210]
	v_fma_f64 v[14:15], v[14:15], v[207:208], v[159:160]
	v_fma_f64 v[28:29], v[28:29], v[66:67], v[157:158]
	v_fma_f64 v[44:45], v[44:45], v[66:67], -v[68:69]
	s_waitcnt vmcnt(4)
	v_mul_f64 v[66:67], v[175:176], v[221:222]
	s_waitcnt lgkmcnt(0)
	v_mul_f64 v[159:160], v[106:107], v[217:218]
	s_waitcnt vmcnt(3)
	v_mul_f64 v[165:166], v[191:192], v[225:226]
	v_fma_f64 v[68:69], v[106:107], v[215:216], -v[161:162]
	v_mul_f64 v[106:107], v[18:19], v[221:222]
	v_fma_f64 v[102:103], v[102:103], v[207:208], -v[153:154]
	v_mul_f64 v[153:154], v[22:23], v[225:226]
	v_fma_f64 v[48:49], v[48:49], v[203:204], -v[171:172]
	s_waitcnt vmcnt(1)
	v_mul_f64 v[157:158], v[104:105], v[229:230]
	v_fma_f64 v[18:19], v[18:19], v[219:220], v[66:67]
	v_mul_f64 v[66:67], v[183:184], v[92:93]
	v_mul_f64 v[92:93], v[10:11], v[92:93]
	v_fma_f64 v[6:7], v[6:7], v[215:216], v[159:160]
	v_fma_f64 v[22:23], v[22:23], v[223:224], v[165:166]
	v_mul_f64 v[159:160], v[16:17], v[229:230]
	s_waitcnt vmcnt(0)
	v_mul_f64 v[161:162], v[108:109], v[96:97]
	v_add_f64 v[165:166], v[233:234], v[235:236]
	v_fma_f64 v[16:17], v[16:17], v[227:228], v[157:158]
	v_add_f64 v[157:158], v[2:3], v[233:234]
	v_fma_f64 v[10:11], v[10:11], v[90:91], v[66:67]
	v_fma_f64 v[66:67], v[183:184], v[90:91], -v[92:93]
	v_add_f64 v[92:93], v[177:178], v[185:186]
	v_fma_f64 v[104:105], v[104:105], v[227:228], -v[159:160]
	v_fma_f64 v[90:91], v[8:9], v[94:95], v[161:162]
	v_fma_f64 v[2:3], v[165:166], -0.5, v[2:3]
	v_add_f64 v[159:160], v[231:232], -v[179:180]
	v_mul_f64 v[8:9], v[8:9], v[96:97]
	v_add_f64 v[96:97], v[157:158], v[235:236]
	v_add_f64 v[157:158], v[20:21], v[12:13]
	v_fma_f64 v[92:93], v[92:93], -0.5, v[64:65]
	v_add_f64 v[161:162], v[20:21], -v[12:13]
	v_add_f64 v[167:168], v[231:232], v[179:180]
	v_add_f64 v[171:172], v[177:178], -v[185:186]
	v_fma_f64 v[165:166], v[159:160], s[4:5], v[2:3]
	v_fma_f64 v[2:3], v[159:160], s[0:1], v[2:3]
	v_add_f64 v[20:21], v[78:79], v[20:21]
	v_fma_f64 v[157:158], v[157:158], -0.5, v[78:79]
	v_fma_f64 v[32:33], v[32:33], v[211:212], v[173:174]
	v_fma_f64 v[159:160], v[161:162], s[0:1], v[92:93]
	;; [unrolled: 1-line block ×3, first 2 shown]
	v_add_f64 v[161:162], v[163:164], v[231:232]
	v_fma_f64 v[163:164], v[167:168], -0.5, v[163:164]
	v_add_f64 v[167:168], v[233:234], -v[235:236]
	v_add_f64 v[64:65], v[64:65], v[177:178]
	v_fma_f64 v[78:79], v[171:172], s[4:5], v[157:158]
	v_fma_f64 v[157:158], v[171:172], s[0:1], v[157:158]
	v_mul_f64 v[171:172], v[159:160], s[4:5]
	v_mul_f64 v[173:174], v[92:93], s[4:5]
	v_add_f64 v[12:13], v[20:21], v[12:13]
	v_fma_f64 v[106:107], v[175:176], v[219:220], -v[106:107]
	v_add_f64 v[161:162], v[161:162], v[179:180]
	v_mul_f64 v[159:160], v[159:160], 0.5
	v_mul_f64 v[92:93], v[92:93], -0.5
	v_fma_f64 v[175:176], v[167:168], s[0:1], v[163:164]
	v_fma_f64 v[20:21], v[78:79], 0.5, v[171:172]
	v_fma_f64 v[171:172], v[157:158], -0.5, v[173:174]
	v_add_f64 v[64:65], v[64:65], v[185:186]
	v_fma_f64 v[163:164], v[167:168], s[4:5], v[163:164]
	v_fma_f64 v[8:9], v[108:109], v[94:95], -v[8:9]
	v_add_f64 v[94:95], v[96:97], v[12:13]
	v_add_f64 v[167:168], v[24:25], v[112:113]
	v_add_f64 v[12:13], v[96:97], -v[12:13]
	v_add_f64 v[96:97], v[114:115], v[155:156]
	v_fma_f64 v[78:79], v[78:79], s[0:1], v[159:160]
	v_fma_f64 v[92:93], v[157:158], s[0:1], v[92:93]
	v_add_f64 v[108:109], v[165:166], v[20:21]
	v_add_f64 v[157:158], v[2:3], v[171:172]
	v_add_f64 v[159:160], v[161:162], v[64:65]
	v_add_f64 v[20:21], v[165:166], -v[20:21]
	v_add_f64 v[2:3], v[2:3], -v[171:172]
	v_add_f64 v[165:166], v[76:77], v[24:25]
	v_fma_f64 v[76:77], v[167:168], -0.5, v[76:77]
	v_add_f64 v[167:168], v[118:119], -v[181:182]
	v_add_f64 v[171:172], v[120:121], v[38:39]
	v_add_f64 v[64:65], v[161:162], -v[64:65]
	v_fma_f64 v[96:97], v[96:97], -0.5, v[110:111]
	v_add_f64 v[161:162], v[120:121], -v[38:39]
	v_add_f64 v[173:174], v[175:176], v[78:79]
	v_add_f64 v[78:79], v[175:176], -v[78:79]
	v_add_f64 v[175:176], v[118:119], v[181:182]
	v_fma_f64 v[179:180], v[167:168], s[4:5], v[76:77]
	v_fma_f64 v[171:172], v[171:172], -0.5, v[4:5]
	v_add_f64 v[183:184], v[114:115], -v[155:156]
	v_fma_f64 v[76:77], v[167:168], s[0:1], v[76:77]
	v_fma_f64 v[167:168], v[161:162], s[0:1], v[96:97]
	;; [unrolled: 1-line block ×3, first 2 shown]
	v_add_f64 v[118:119], v[241:242], v[118:119]
	v_add_f64 v[4:5], v[4:5], v[120:121]
	;; [unrolled: 1-line block ×3, first 2 shown]
	v_fma_f64 v[161:162], v[175:176], -0.5, v[241:242]
	v_add_f64 v[24:25], v[24:25], -v[112:113]
	v_fma_f64 v[112:113], v[183:184], s[4:5], v[171:172]
	v_fma_f64 v[120:121], v[183:184], s[0:1], v[171:172]
	v_mul_f64 v[171:172], v[167:168], s[4:5]
	v_mul_f64 v[175:176], v[96:97], s[4:5]
	v_add_f64 v[110:111], v[110:111], v[114:115]
	v_add_f64 v[114:115], v[118:119], v[181:182]
	v_mul_f64 v[118:119], v[167:168], 0.5
	v_add_f64 v[4:5], v[4:5], v[38:39]
	v_add_f64 v[177:178], v[163:164], v[92:93]
	v_mul_f64 v[96:97], v[96:97], -0.5
	v_fma_f64 v[38:39], v[112:113], 0.5, v[171:172]
	v_fma_f64 v[171:172], v[120:121], -0.5, v[175:176]
	v_add_f64 v[110:111], v[110:111], v[155:156]
	v_fma_f64 v[167:168], v[24:25], s[0:1], v[161:162]
	v_fma_f64 v[112:113], v[112:113], s[0:1], v[118:119]
	v_add_f64 v[118:119], v[163:164], -v[92:93]
	v_add_f64 v[92:93], v[165:166], v[4:5]
	v_add_f64 v[163:164], v[30:31], v[26:27]
	v_add_f64 v[4:5], v[165:166], -v[4:5]
	v_add_f64 v[165:166], v[151:152], v[169:170]
	v_fma_f64 v[24:25], v[24:25], s[4:5], v[161:162]
	v_fma_f64 v[96:97], v[120:121], s[0:1], v[96:97]
	v_add_f64 v[120:121], v[179:180], v[38:39]
	v_add_f64 v[155:156], v[76:77], v[171:172]
	;; [unrolled: 1-line block ×3, first 2 shown]
	v_add_f64 v[38:39], v[179:180], -v[38:39]
	v_add_f64 v[76:77], v[76:77], -v[171:172]
	v_add_f64 v[171:172], v[74:75], v[30:31]
	v_fma_f64 v[74:75], v[163:164], -0.5, v[74:75]
	v_add_f64 v[163:164], v[98:99], -v[42:43]
	v_add_f64 v[179:180], v[116:117], v[40:41]
	v_add_f64 v[110:111], v[114:115], -v[110:111]
	v_fma_f64 v[114:115], v[165:166], -0.5, v[46:47]
	v_add_f64 v[165:166], v[116:117], -v[40:41]
	v_add_f64 v[175:176], v[167:168], v[112:113]
	v_add_f64 v[112:113], v[167:168], -v[112:113]
	v_add_f64 v[167:168], v[171:172], v[26:27]
	v_add_f64 v[171:172], v[98:99], v[42:43]
	v_fma_f64 v[183:184], v[163:164], s[4:5], v[74:75]
	v_fma_f64 v[179:180], v[179:180], -0.5, v[34:35]
	v_add_f64 v[185:186], v[151:152], -v[169:170]
	v_fma_f64 v[74:75], v[163:164], s[0:1], v[74:75]
	v_fma_f64 v[163:164], v[165:166], s[0:1], v[114:115]
	;; [unrolled: 1-line block ×3, first 2 shown]
	v_add_f64 v[26:27], v[30:31], -v[26:27]
	v_add_f64 v[30:31], v[34:35], v[116:117]
	v_add_f64 v[98:99], v[243:244], v[98:99]
	v_fma_f64 v[165:166], v[171:172], -0.5, v[243:244]
	v_fma_f64 v[34:35], v[185:186], s[4:5], v[179:180]
	v_fma_f64 v[116:117], v[185:186], s[0:1], v[179:180]
	v_mul_f64 v[171:172], v[163:164], s[4:5]
	v_mul_f64 v[179:180], v[114:115], s[4:5]
	v_add_f64 v[46:47], v[46:47], v[151:152]
	v_add_f64 v[30:31], v[30:31], v[40:41]
	;; [unrolled: 1-line block ×4, first 2 shown]
	v_mul_f64 v[98:99], v[163:164], 0.5
	v_mul_f64 v[114:115], v[114:115], -0.5
	v_fma_f64 v[40:41], v[34:35], 0.5, v[171:172]
	v_fma_f64 v[163:164], v[116:117], -0.5, v[179:180]
	v_add_f64 v[46:47], v[46:47], v[169:170]
	v_add_f64 v[96:97], v[24:25], -v[96:97]
	v_add_f64 v[24:25], v[167:168], v[30:31]
	v_add_f64 v[169:170], v[32:33], v[28:29]
	v_add_f64 v[30:31], v[167:168], -v[30:31]
	v_add_f64 v[167:168], v[102:103], v[68:69]
	v_fma_f64 v[151:152], v[26:27], s[0:1], v[165:166]
	v_fma_f64 v[26:27], v[26:27], s[4:5], v[165:166]
	;; [unrolled: 1-line block ×4, first 2 shown]
	v_add_f64 v[114:115], v[183:184], v[40:41]
	v_add_f64 v[116:117], v[74:75], v[163:164]
	;; [unrolled: 1-line block ×3, first 2 shown]
	v_add_f64 v[40:41], v[183:184], -v[40:41]
	v_add_f64 v[74:75], v[74:75], -v[163:164]
	v_add_f64 v[163:164], v[72:73], v[32:33]
	v_fma_f64 v[72:73], v[169:170], -0.5, v[72:73]
	v_add_f64 v[169:170], v[100:101], -v[44:45]
	v_add_f64 v[183:184], v[14:15], v[6:7]
	v_add_f64 v[185:186], v[42:43], -v[46:47]
	v_fma_f64 v[42:43], v[167:168], -0.5, v[48:49]
	v_add_f64 v[46:47], v[14:15], -v[6:7]
	v_add_f64 v[171:172], v[151:152], v[34:35]
	v_add_f64 v[151:152], v[151:152], -v[34:35]
	v_add_f64 v[34:35], v[163:164], v[28:29]
	v_add_f64 v[163:164], v[100:101], v[44:45]
	v_fma_f64 v[167:168], v[169:170], s[4:5], v[72:73]
	v_fma_f64 v[183:184], v[183:184], -0.5, v[36:37]
	v_add_f64 v[187:188], v[102:103], -v[68:69]
	v_fma_f64 v[72:73], v[169:170], s[0:1], v[72:73]
	v_fma_f64 v[169:170], v[46:47], s[0:1], v[42:43]
	;; [unrolled: 1-line block ×3, first 2 shown]
	v_add_f64 v[14:15], v[36:37], v[14:15]
	v_add_f64 v[46:47], v[52:53], v[100:101]
	v_fma_f64 v[52:53], v[163:164], -0.5, v[52:53]
	v_add_f64 v[28:29], v[32:33], -v[28:29]
	v_fma_f64 v[32:33], v[187:188], s[4:5], v[183:184]
	v_fma_f64 v[36:37], v[187:188], s[0:1], v[183:184]
	v_mul_f64 v[100:101], v[169:170], s[4:5]
	v_mul_f64 v[163:164], v[42:43], s[4:5]
	v_add_f64 v[48:49], v[48:49], v[102:103]
	v_mul_f64 v[42:43], v[42:43], -0.5
	v_add_f64 v[6:7], v[14:15], v[6:7]
	v_fma_f64 v[153:154], v[191:192], v[223:224], -v[153:154]
	v_add_f64 v[179:180], v[26:27], v[98:99]
	v_add_f64 v[44:45], v[46:47], v[44:45]
	v_mul_f64 v[46:47], v[169:170], 0.5
	v_fma_f64 v[14:15], v[32:33], 0.5, v[100:101]
	v_fma_f64 v[100:101], v[36:37], -0.5, v[163:164]
	v_add_f64 v[48:49], v[48:49], v[68:69]
	v_fma_f64 v[36:37], v[36:37], s[0:1], v[42:43]
	v_add_f64 v[26:27], v[26:27], -v[98:99]
	v_add_f64 v[42:43], v[34:35], v[6:7]
	v_add_f64 v[98:99], v[18:19], v[10:11]
	v_add_f64 v[34:35], v[34:35], -v[6:7]
	v_add_f64 v[6:7], v[104:105], v[8:9]
	v_fma_f64 v[102:103], v[28:29], s[0:1], v[52:53]
	v_fma_f64 v[28:29], v[28:29], s[4:5], v[52:53]
	;; [unrolled: 1-line block ×3, first 2 shown]
	v_add_f64 v[46:47], v[167:168], v[14:15]
	v_add_f64 v[52:53], v[72:73], v[100:101]
	;; [unrolled: 1-line block ×3, first 2 shown]
	v_add_f64 v[14:15], v[167:168], -v[14:15]
	v_add_f64 v[167:168], v[70:71], v[18:19]
	v_add_f64 v[72:73], v[72:73], -v[100:101]
	v_fma_f64 v[70:71], v[98:99], -0.5, v[70:71]
	v_add_f64 v[98:99], v[106:107], -v[66:67]
	v_add_f64 v[100:101], v[16:17], v[90:91]
	v_add_f64 v[183:184], v[44:45], -v[48:49]
	v_fma_f64 v[6:7], v[6:7], -0.5, v[153:154]
	v_add_f64 v[44:45], v[16:17], -v[90:91]
	v_add_f64 v[48:49], v[167:168], v[10:11]
	v_add_f64 v[167:168], v[50:51], v[106:107]
	;; [unrolled: 1-line block ×3, first 2 shown]
	v_fma_f64 v[187:188], v[98:99], s[4:5], v[70:71]
	v_fma_f64 v[100:101], v[100:101], -0.5, v[22:23]
	v_add_f64 v[189:190], v[104:105], -v[8:9]
	v_fma_f64 v[70:71], v[98:99], s[0:1], v[70:71]
	v_fma_f64 v[98:99], v[44:45], s[0:1], v[6:7]
	;; [unrolled: 1-line block ×3, first 2 shown]
	v_add_f64 v[44:45], v[167:168], v[66:67]
	v_fma_f64 v[50:51], v[106:107], -0.5, v[50:51]
	v_add_f64 v[10:11], v[18:19], -v[10:11]
	v_add_f64 v[16:17], v[22:23], v[16:17]
	v_fma_f64 v[18:19], v[189:190], s[4:5], v[100:101]
	v_fma_f64 v[22:23], v[189:190], s[0:1], v[100:101]
	v_mul_f64 v[66:67], v[98:99], s[4:5]
	v_mul_f64 v[100:101], v[6:7], s[4:5]
	v_mul_f64 v[6:7], v[6:7], -0.5
	v_add_f64 v[104:105], v[153:154], v[104:105]
	v_mul_f64 v[98:99], v[98:99], 0.5
	v_fma_f64 v[106:107], v[10:11], s[0:1], v[50:51]
	v_fma_f64 v[10:11], v[10:11], s[4:5], v[50:51]
	v_add_f64 v[16:17], v[16:17], v[90:91]
	v_fma_f64 v[50:51], v[18:19], 0.5, v[66:67]
	v_fma_f64 v[66:67], v[22:23], -0.5, v[100:101]
	v_fma_f64 v[6:7], v[22:23], s[0:1], v[6:7]
	v_add_f64 v[163:164], v[102:103], v[32:33]
	v_add_f64 v[169:170], v[28:29], v[36:37]
	;; [unrolled: 1-line block ×3, first 2 shown]
	v_fma_f64 v[18:19], v[18:19], s[0:1], v[98:99]
	v_add_f64 v[98:99], v[102:103], -v[32:33]
	v_add_f64 v[28:29], v[28:29], -v[36:37]
	v_add_f64 v[22:23], v[48:49], v[16:17]
	v_add_f64 v[32:33], v[187:188], v[50:51]
	;; [unrolled: 1-line block ×4, first 2 shown]
	v_add_f64 v[16:17], v[48:49], -v[16:17]
	v_add_f64 v[48:49], v[187:188], -v[50:51]
	;; [unrolled: 1-line block ×4, first 2 shown]
	v_mov_b32_e32 v6, 3
	v_mul_u32_u24_e32 v7, 0x1e0, v54
	v_lshlrev_b32_sdwa v10, v6, v55 dst_sel:DWORD dst_unused:UNUSED_PAD src0_sel:DWORD src1_sel:BYTE_0
	v_add3_u32 v7, 0, v7, v10
	s_barrier
	ds_write2_b64 v7, v[94:95], v[108:109] offset1:10
	ds_write2_b64 v7, v[157:158], v[12:13] offset0:20 offset1:30
	ds_write2_b64 v7, v[20:21], v[2:3] offset0:40 offset1:50
	v_mul_u32_u24_e32 v2, 0x1e0, v56
	v_lshlrev_b32_sdwa v3, v6, v57 dst_sel:DWORD dst_unused:UNUSED_PAD src0_sel:DWORD src1_sel:BYTE_0
	v_add3_u32 v2, 0, v2, v3
	ds_write2_b64 v2, v[92:93], v[120:121] offset1:10
	ds_write2_b64 v2, v[155:156], v[4:5] offset0:20 offset1:30
	ds_write2_b64 v2, v[38:39], v[76:77] offset0:40 offset1:50
	v_mul_u32_u24_e32 v3, 0x1e0, v58
	v_lshlrev_b32_e32 v4, 3, v59
	v_add3_u32 v3, 0, v3, v4
	v_mul_u32_u24_e32 v4, 0x1e0, v60
	v_lshlrev_b32_e32 v5, 3, v61
	v_add3_u32 v4, 0, v4, v5
	;; [unrolled: 3-line block ×3, first 2 shown]
	v_lshl_add_u32 v90, v143, 3, 0
	v_lshl_add_u32 v21, v138, 3, 0
	s_movk_i32 s0, 0x89
	v_add_f64 v[100:101], v[44:45], v[8:9]
	v_add_f64 v[102:103], v[106:107], v[18:19]
	v_add_f64 v[8:9], v[44:45], -v[8:9]
	v_add_f64 v[18:19], v[106:107], -v[18:19]
	ds_write2_b64 v3, v[24:25], v[114:115] offset1:10
	ds_write2_b64 v3, v[116:117], v[30:31] offset0:20 offset1:30
	ds_write2_b64 v3, v[40:41], v[74:75] offset0:40 offset1:50
	ds_write2_b64 v4, v[42:43], v[46:47] offset1:10
	ds_write2_b64 v4, v[52:53], v[34:35] offset0:20 offset1:30
	ds_write2_b64 v4, v[14:15], v[72:73] offset0:40 offset1:50
	;; [unrolled: 3-line block ×3, first 2 shown]
	s_waitcnt lgkmcnt(0)
	s_barrier
	ds_read2st64_b64 v[10:13], v85 offset1:30
	ds_read2st64_b64 v[30:33], v85 offset0:32 offset1:34
	ds_read_b64 v[14:15], v81
	ds_read_b64 v[187:188], v82
	ds_read2st64_b64 v[34:37], v85 offset0:36 offset1:38
	ds_read_b64 v[189:190], v86
	ds_read2st64_b64 v[38:41], v85 offset0:40 offset1:42
	v_lshl_add_u32 v91, v128, 3, 0
	ds_read2st64_b64 v[42:45], v85 offset0:44 offset1:46
	v_lshl_add_u32 v92, v133, 3, 0
	v_lshl_add_u32 v93, v126, 3, 0
	ds_read_b64 v[191:192], v90
	ds_read_b64 v[193:194], v91
	ds_read_b64 v[195:196], v92
	ds_read_b64 v[197:198], v93
	ds_read2st64_b64 v[46:49], v85 offset0:48 offset1:50
	ds_read_b64 v[199:200], v89
	ds_read_b64 v[201:202], v88
	;; [unrolled: 1-line block ×3, first 2 shown]
	ds_read2st64_b64 v[50:53], v85 offset0:52 offset1:54
	v_lshl_add_u32 v22, v129, 3, 0
	v_lshl_add_u32 v23, v136, 3, 0
	ds_read2st64_b64 v[54:57], v85 offset0:56 offset1:58
	v_lshl_add_u32 v24, v142, 3, 0
	ds_read_b64 v[205:206], v21
	ds_read_b64 v[207:208], v22
	;; [unrolled: 1-line block ×4, first 2 shown]
	s_waitcnt lgkmcnt(0)
	s_barrier
	ds_write2_b64 v7, v[159:160], v[173:174] offset1:10
	ds_write2_b64 v7, v[177:178], v[64:65] offset0:20 offset1:30
	ds_write2_b64 v7, v[78:79], v[118:119] offset0:40 offset1:50
	ds_write2_b64 v2, v[161:162], v[175:176] offset1:10
	ds_write2_b64 v2, v[181:182], v[110:111] offset0:20 offset1:30
	ds_write2_b64 v2, v[112:113], v[96:97] offset0:40 offset1:50
	;; [unrolled: 3-line block ×5, first 2 shown]
	v_mul_lo_u16_sdwa v2, v0, s0 dst_sel:DWORD dst_unused:UNUSED_PAD src0_sel:BYTE_0 src1_sel:DWORD
	v_lshrrev_b16_e32 v16, 13, v2
	v_mul_lo_u16_sdwa v8, v140, s0 dst_sel:DWORD dst_unused:UNUSED_PAD src0_sel:BYTE_0 src1_sel:DWORD
	v_mul_lo_u16_e32 v2, 60, v16
	v_lshrrev_b16_e32 v80, 13, v8
	v_sub_u16_e32 v18, v0, v2
	v_mul_lo_u16_e32 v2, 60, v80
	s_mov_b32 s0, 0x8889
	v_mov_b32_e32 v7, 4
	v_sub_u16_e32 v127, v140, v2
	v_mul_u32_u24_sdwa v9, v134, s0 dst_sel:DWORD dst_unused:UNUSED_PAD src0_sel:WORD_0 src1_sel:DWORD
	v_lshlrev_b32_sdwa v2, v7, v127 dst_sel:DWORD dst_unused:UNUSED_PAD src0_sel:DWORD src1_sel:BYTE_0
	v_lshrrev_b32_e32 v130, 21, v9
	s_waitcnt lgkmcnt(0)
	s_barrier
	global_load_dwordx4 v[58:61], v2, s[12:13] offset:800
	v_mul_lo_u16_e32 v2, 60, v130
	v_sub_u16_e32 v132, v134, v2
	v_mul_u32_u24_sdwa v2, v145, s0 dst_sel:DWORD dst_unused:UNUSED_PAD src0_sel:WORD_0 src1_sel:DWORD
	v_lshrrev_b32_e32 v137, 21, v2
	v_mul_lo_u16_e32 v4, 60, v137
	v_lshlrev_b32_e32 v3, 4, v132
	v_sub_u16_e32 v139, v145, v4
	v_lshlrev_b32_e32 v4, 4, v139
	global_load_dwordx4 v[62:65], v3, s[12:13] offset:800
	global_load_dwordx4 v[66:69], v4, s[12:13] offset:800
	v_mul_u32_u24_sdwa v3, v147, s0 dst_sel:DWORD dst_unused:UNUSED_PAD src0_sel:WORD_0 src1_sel:DWORD
	v_lshrrev_b32_e32 v221, 21, v3
	v_mul_lo_u16_e32 v4, 60, v221
	v_sub_u16_e32 v222, v147, v4
	v_mul_u32_u24_sdwa v4, v149, s0 dst_sel:DWORD dst_unused:UNUSED_PAD src0_sel:WORD_0 src1_sel:DWORD
	v_lshrrev_b32_e32 v223, 21, v4
	v_mul_lo_u16_e32 v17, 60, v223
	v_lshlrev_b32_e32 v5, 4, v222
	v_sub_u16_e32 v224, v149, v17
	v_lshlrev_b32_e32 v17, 4, v224
	global_load_dwordx4 v[70:73], v5, s[12:13] offset:800
	global_load_dwordx4 v[74:77], v17, s[12:13] offset:800
	v_mul_u32_u24_sdwa v5, v143, s0 dst_sel:DWORD dst_unused:UNUSED_PAD src0_sel:WORD_0 src1_sel:DWORD
	v_lshrrev_b32_e32 v225, 21, v5
	v_mul_lo_u16_e32 v17, 60, v225
	v_sub_u16_e32 v226, v143, v17
	v_lshlrev_b32_e32 v17, 4, v226
	global_load_dwordx4 v[94:97], v17, s[12:13] offset:800
	v_lshlrev_b32_sdwa v17, v7, v18 dst_sel:DWORD dst_unused:UNUSED_PAD src0_sel:DWORD src1_sel:BYTE_0
	global_load_dwordx4 v[98:101], v17, s[12:13] offset:800
	v_mul_u32_u24_sdwa v17, v128, s0 dst_sel:DWORD dst_unused:UNUSED_PAD src0_sel:WORD_0 src1_sel:DWORD
	v_lshrrev_b32_e32 v227, 21, v17
	v_mul_lo_u16_e32 v19, 60, v227
	v_sub_u16_e32 v228, v128, v19
	v_lshlrev_b32_e32 v19, 4, v228
	global_load_dwordx4 v[102:105], v19, s[12:13] offset:800
	v_mul_u32_u24_sdwa v29, v133, s0 dst_sel:DWORD dst_unused:UNUSED_PAD src0_sel:WORD_0 src1_sel:DWORD
	v_lshrrev_b32_e32 v229, 21, v29
	v_mul_lo_u16_e32 v19, 60, v229
	v_sub_u16_e32 v230, v133, v19
	v_mul_u32_u24_sdwa v28, v126, s0 dst_sel:DWORD dst_unused:UNUSED_PAD src0_sel:WORD_0 src1_sel:DWORD
	v_lshlrev_b32_e32 v19, 4, v230
	v_lshrrev_b32_e32 v231, 21, v28
	global_load_dwordx4 v[106:109], v19, s[12:13] offset:800
	v_mul_lo_u16_e32 v19, 60, v231
	v_sub_u16_e32 v232, v126, v19
	v_lshlrev_b32_e32 v19, 4, v232
	v_mul_u32_u24_sdwa v27, v131, s0 dst_sel:DWORD dst_unused:UNUSED_PAD src0_sel:WORD_0 src1_sel:DWORD
	global_load_dwordx4 v[110:113], v19, s[12:13] offset:800
	v_lshrrev_b32_e32 v233, 21, v27
	v_mul_lo_u16_e32 v19, 60, v233
	v_sub_u16_e32 v234, v131, v19
	v_mul_u32_u24_sdwa v19, v138, s0 dst_sel:DWORD dst_unused:UNUSED_PAD src0_sel:WORD_0 src1_sel:DWORD
	v_lshlrev_b32_e32 v20, 4, v234
	v_lshrrev_b32_e32 v235, 21, v19
	global_load_dwordx4 v[114:117], v20, s[12:13] offset:800
	v_mul_lo_u16_e32 v20, 60, v235
	v_sub_u16_e32 v236, v138, v20
	v_mul_u32_u24_sdwa v26, v129, s0 dst_sel:DWORD dst_unused:UNUSED_PAD src0_sel:WORD_0 src1_sel:DWORD
	v_lshlrev_b32_e32 v20, 4, v236
	v_lshrrev_b32_e32 v237, 21, v26
	v_mul_u32_u24_sdwa v25, v136, s0 dst_sel:DWORD dst_unused:UNUSED_PAD src0_sel:WORD_0 src1_sel:DWORD
	global_load_dwordx4 v[118:121], v20, s[12:13] offset:800
	v_mul_lo_u16_e32 v20, 60, v237
	v_lshrrev_b32_e32 v239, 21, v25
	v_sub_u16_e32 v238, v129, v20
	v_mul_lo_u16_e32 v78, 60, v239
	v_lshlrev_b32_e32 v20, 4, v238
	v_sub_u16_e32 v240, v136, v78
	global_load_dwordx4 v[151:154], v20, s[12:13] offset:800
	v_lshlrev_b32_e32 v20, 4, v240
	global_load_dwordx4 v[155:158], v20, s[12:13] offset:800
	v_mul_u32_u24_sdwa v20, v142, s0 dst_sel:DWORD dst_unused:UNUSED_PAD src0_sel:WORD_0 src1_sel:DWORD
	v_lshrrev_b32_e32 v241, 21, v20
	v_mul_lo_u16_e32 v78, 60, v241
	v_sub_u16_e32 v242, v142, v78
	v_lshlrev_b32_e32 v78, 4, v242
	global_load_dwordx4 v[159:162], v78, s[12:13] offset:800
	ds_read2st64_b64 v[163:166], v85 offset0:32 offset1:34
	ds_read2st64_b64 v[167:170], v85 offset1:30
	ds_read_b64 v[78:79], v81
	ds_read_b64 v[179:180], v82
	ds_read2st64_b64 v[171:174], v85 offset0:36 offset1:38
	ds_read2st64_b64 v[175:178], v85 offset0:40 offset1:42
	ds_read_b64 v[183:184], v86
	s_waitcnt vmcnt(14) lgkmcnt(6)
	v_mul_f64 v[181:182], v[163:164], v[60:61]
	v_mul_f64 v[60:61], v[30:31], v[60:61]
	v_mul_u32_u24_e32 v16, 0x3c0, v16
	v_lshlrev_b32_sdwa v18, v6, v18 dst_sel:DWORD dst_unused:UNUSED_PAD src0_sel:DWORD src1_sel:BYTE_0
	v_add3_u32 v16, 0, v16, v18
	s_movk_i32 s0, 0x78
	v_cmp_gt_u32_e64 s[0:1], s0, v0
	s_movk_i32 s5, 0x1e0
	s_waitcnt vmcnt(13)
	v_mul_f64 v[185:186], v[165:166], v[64:65]
	v_mul_f64 v[64:65], v[32:33], v[64:65]
	s_waitcnt vmcnt(12) lgkmcnt(2)
	v_mul_f64 v[213:214], v[171:172], v[68:69]
	v_mul_f64 v[68:69], v[34:35], v[68:69]
	v_fma_f64 v[181:182], v[30:31], v[58:59], v[181:182]
	v_fma_f64 v[163:164], v[163:164], v[58:59], -v[60:61]
	ds_read2st64_b64 v[58:61], v85 offset0:44 offset1:46
	s_movk_i32 s4, 0x3c0
	v_fma_f64 v[185:186], v[32:33], v[62:63], v[185:186]
	v_fma_f64 v[62:63], v[165:166], v[62:63], -v[64:65]
	v_fma_f64 v[64:65], v[34:35], v[66:67], v[213:214]
	v_fma_f64 v[66:67], v[171:172], v[66:67], -v[68:69]
	s_waitcnt vmcnt(11)
	v_mul_f64 v[30:31], v[173:174], v[72:73]
	v_mul_f64 v[34:35], v[36:37], v[72:73]
	s_waitcnt vmcnt(10) lgkmcnt(2)
	v_mul_f64 v[68:69], v[175:176], v[76:77]
	v_mul_f64 v[72:73], v[38:39], v[76:77]
	ds_read_b64 v[165:166], v90
	ds_read_b64 v[171:172], v91
	;; [unrolled: 1-line block ×4, first 2 shown]
	s_waitcnt vmcnt(9)
	v_mul_f64 v[76:77], v[177:178], v[96:97]
	v_add_f64 v[64:65], v[201:202], -v[64:65]
	v_fma_f64 v[217:218], v[36:37], v[70:71], v[30:31]
	v_fma_f64 v[70:71], v[173:174], v[70:71], -v[34:35]
	v_fma_f64 v[68:69], v[38:39], v[74:75], v[68:69]
	v_fma_f64 v[72:73], v[175:176], v[74:75], -v[72:73]
	v_mul_f64 v[34:35], v[40:41], v[96:97]
	ds_read2st64_b64 v[30:33], v85 offset0:48 offset1:50
	v_fma_f64 v[74:75], v[40:41], v[94:95], v[76:77]
	s_waitcnt vmcnt(7) lgkmcnt(5)
	v_mul_f64 v[76:77], v[58:59], v[104:105]
	v_mul_f64 v[96:97], v[42:43], v[104:105]
	ds_read_b64 v[173:174], v89
	ds_read_b64 v[175:176], v88
	ds_read_b64 v[219:220], v87
	v_add_f64 v[68:69], v[189:190], -v[68:69]
	v_add_f64 v[72:73], v[183:184], -v[72:73]
	v_fma_f64 v[94:95], v[177:178], v[94:95], -v[34:35]
	v_mul_f64 v[177:178], v[169:170], v[100:101]
	s_waitcnt vmcnt(6)
	v_mul_f64 v[104:105], v[60:61], v[108:109]
	v_fma_f64 v[42:43], v[42:43], v[102:103], v[76:77]
	v_fma_f64 v[58:59], v[58:59], v[102:103], -v[96:97]
	ds_read2st64_b64 v[34:37], v85 offset0:52 offset1:54
	ds_read2st64_b64 v[38:41], v85 offset0:56 offset1:58
	v_mul_f64 v[108:109], v[44:45], v[108:109]
	s_waitcnt vmcnt(5) lgkmcnt(5)
	v_mul_f64 v[76:77], v[30:31], v[112:113]
	v_mul_f64 v[96:97], v[46:47], v[112:113]
	v_add_f64 v[74:75], v[191:192], -v[74:75]
	v_fma_f64 v[44:45], v[44:45], v[106:107], v[104:105]
	v_add_f64 v[42:43], v[193:194], -v[42:43]
	v_add_f64 v[94:95], v[165:166], -v[94:95]
	s_waitcnt lgkmcnt(3)
	v_add_f64 v[66:67], v[175:176], -v[66:67]
	s_waitcnt vmcnt(4)
	v_mul_f64 v[104:105], v[48:49], v[116:117]
	v_mul_f64 v[102:103], v[32:33], v[116:117]
	v_fma_f64 v[46:47], v[46:47], v[110:111], v[76:77]
	v_fma_f64 v[30:31], v[30:31], v[110:111], -v[96:97]
	v_mul_f64 v[76:77], v[12:13], v[100:101]
	v_fma_f64 v[12:13], v[12:13], v[98:99], v[177:178]
	v_add_f64 v[44:45], v[195:196], -v[44:45]
	s_waitcnt vmcnt(3) lgkmcnt(1)
	v_mul_f64 v[96:97], v[34:35], v[120:121]
	v_mul_f64 v[100:101], v[50:51], v[120:121]
	v_fma_f64 v[32:33], v[32:33], v[114:115], -v[104:105]
	v_fma_f64 v[48:49], v[48:49], v[114:115], v[102:103]
	v_add_f64 v[46:47], v[197:198], -v[46:47]
	v_fma_f64 v[76:77], v[169:170], v[98:99], -v[76:77]
	v_add_f64 v[12:13], v[10:11], -v[12:13]
	s_waitcnt vmcnt(2)
	v_mul_f64 v[104:105], v[52:53], v[153:154]
	v_mul_f64 v[102:103], v[36:37], v[153:154]
	s_waitcnt vmcnt(1) lgkmcnt(0)
	v_mul_f64 v[110:111], v[38:39], v[157:158]
	v_mul_f64 v[114:115], v[54:55], v[157:158]
	v_fma_f64 v[50:51], v[50:51], v[118:119], v[96:97]
	v_fma_f64 v[34:35], v[34:35], v[118:119], -v[100:101]
	v_add_f64 v[100:101], v[14:15], -v[181:182]
	v_add_f64 v[76:77], v[167:168], -v[76:77]
	s_waitcnt vmcnt(0)
	v_mul_f64 v[96:97], v[40:41], v[161:162]
	v_fma_f64 v[36:37], v[36:37], v[151:152], -v[104:105]
	v_add_f64 v[104:105], v[187:188], -v[185:186]
	v_fma_f64 v[52:53], v[52:53], v[151:152], v[102:103]
	v_fma_f64 v[54:55], v[54:55], v[155:156], v[110:111]
	v_fma_f64 v[38:39], v[38:39], v[155:156], -v[114:115]
	v_mul_f64 v[98:99], v[56:57], v[161:162]
	v_add_f64 v[110:111], v[179:180], -v[62:63]
	v_fma_f64 v[56:57], v[56:57], v[159:160], v[96:97]
	v_add_f64 v[114:115], v[199:200], -v[217:218]
	v_fma_f64 v[10:11], v[10:11], 2.0, -v[12:13]
	v_fma_f64 v[14:15], v[14:15], 2.0, -v[100:101]
	v_fma_f64 v[60:61], v[60:61], v[106:107], -v[108:109]
	ds_read_b64 v[106:107], v21
	ds_read_b64 v[108:109], v22
	;; [unrolled: 1-line block ×4, first 2 shown]
	v_fma_f64 v[62:63], v[187:188], 2.0, -v[104:105]
	v_fma_f64 v[118:119], v[201:202], 2.0, -v[64:65]
	v_fma_f64 v[40:41], v[40:41], v[159:160], -v[98:99]
	v_fma_f64 v[96:97], v[167:168], 2.0, -v[76:77]
	v_fma_f64 v[98:99], v[179:180], 2.0, -v[110:111]
	;; [unrolled: 1-line block ×4, first 2 shown]
	v_add_f64 v[167:168], v[215:216], -v[30:31]
	v_add_f64 v[30:31], v[203:204], -v[48:49]
	;; [unrolled: 1-line block ×3, first 2 shown]
	s_waitcnt lgkmcnt(3)
	v_add_f64 v[179:180], v[106:107], -v[34:35]
	v_add_f64 v[34:35], v[207:208], -v[52:53]
	s_waitcnt lgkmcnt(2)
	v_add_f64 v[181:182], v[108:109], -v[36:37]
	v_add_f64 v[36:37], v[209:210], -v[54:55]
	;; [unrolled: 3-line block ×3, first 2 shown]
	v_add_f64 v[102:103], v[78:79], -v[163:164]
	s_waitcnt lgkmcnt(0)
	s_barrier
	ds_write2_b64 v16, v[10:11], v[12:13] offset1:60
	v_mul_u32_u24_e32 v10, 0x3c0, v80
	v_lshlrev_b32_sdwa v11, v6, v127 dst_sel:DWORD dst_unused:UNUSED_PAD src0_sel:DWORD src1_sel:BYTE_0
	v_fma_f64 v[159:160], v[191:192], 2.0, -v[74:75]
	v_add3_u32 v18, 0, v10, v11
	v_mul_u32_u24_e32 v10, 0x3c0, v130
	v_lshlrev_b32_e32 v11, 3, v132
	v_add_f64 v[163:164], v[171:172], -v[58:59]
	v_add_f64 v[169:170], v[219:220], -v[32:33]
	v_fma_f64 v[32:33], v[193:194], 2.0, -v[42:43]
	v_fma_f64 v[48:49], v[195:196], 2.0, -v[44:45]
	;; [unrolled: 1-line block ×3, first 2 shown]
	ds_write2_b64 v18, v[14:15], v[100:101] offset1:60
	v_add3_u32 v14, 0, v10, v11
	v_mul_u32_u24_e32 v10, 0x3c0, v137
	v_lshlrev_b32_e32 v11, 3, v139
	v_add_f64 v[70:71], v[173:174], -v[70:71]
	v_add3_u32 v15, 0, v10, v11
	v_mul_u32_u24_e32 v10, 0x3c0, v221
	v_lshlrev_b32_e32 v11, 3, v222
	ds_write2_b64 v14, v[62:63], v[104:105] offset1:60
	v_add3_u32 v63, 0, v10, v11
	v_mul_u32_u24_e32 v10, 0x3c0, v223
	v_lshlrev_b32_e32 v11, 3, v224
	ds_write2_b64 v15, v[118:119], v[64:65] offset1:60
	v_add3_u32 v64, 0, v10, v11
	v_mul_u32_u24_e32 v10, 0x3c0, v225
	v_lshlrev_b32_e32 v11, 3, v226
	v_add3_u32 v65, 0, v10, v11
	v_mul_u32_u24_e32 v10, 0x3c0, v227
	v_lshlrev_b32_e32 v11, 3, v228
	v_fma_f64 v[157:158], v[183:184], 2.0, -v[72:73]
	v_fma_f64 v[161:162], v[165:166], 2.0, -v[94:95]
	v_add_f64 v[165:166], v[213:214], -v[60:61]
	v_fma_f64 v[60:61], v[203:204], 2.0, -v[30:31]
	v_add_f64 v[56:57], v[116:117], -v[40:41]
	v_fma_f64 v[40:41], v[205:206], 2.0, -v[50:51]
	v_fma_f64 v[52:53], v[207:208], 2.0, -v[34:35]
	v_fma_f64 v[183:184], v[209:210], 2.0, -v[36:37]
	v_fma_f64 v[185:186], v[211:212], 2.0, -v[38:39]
	ds_write2_b64 v63, v[151:152], v[114:115] offset1:60
	ds_write2_b64 v64, v[155:156], v[68:69] offset1:60
	v_add3_u32 v68, 0, v10, v11
	v_mul_u32_u24_e32 v10, 0x3c0, v229
	v_lshlrev_b32_e32 v11, 3, v230
	v_fma_f64 v[78:79], v[78:79], 2.0, -v[102:103]
	v_add3_u32 v69, 0, v10, v11
	v_mul_u32_u24_e32 v10, 0x3c0, v231
	v_lshlrev_b32_e32 v11, 3, v232
	ds_write2_b64 v65, v[159:160], v[74:75] offset1:60
	v_add3_u32 v74, 0, v10, v11
	v_mul_u32_u24_e32 v10, 0x3c0, v233
	v_lshlrev_b32_e32 v11, 3, v234
	v_fma_f64 v[120:121], v[175:176], 2.0, -v[66:67]
	ds_write2_b64 v68, v[32:33], v[42:43] offset1:60
	ds_write2_b64 v69, v[48:49], v[44:45] offset1:60
	;; [unrolled: 1-line block ×3, first 2 shown]
	v_add3_u32 v58, 0, v10, v11
	v_mul_u32_u24_e32 v10, 0x3c0, v235
	v_lshlrev_b32_e32 v11, 3, v236
	v_fma_f64 v[153:154], v[173:174], 2.0, -v[70:71]
	v_add3_u32 v75, 0, v10, v11
	v_mul_u32_u24_e32 v10, 0x3c0, v237
	v_lshlrev_b32_e32 v11, 3, v238
	v_add3_u32 v80, 0, v10, v11
	v_mul_u32_u24_e32 v10, 0x3c0, v239
	v_lshlrev_b32_e32 v11, 3, v240
	;; [unrolled: 3-line block ×3, first 2 shown]
	v_fma_f64 v[171:172], v[171:172], 2.0, -v[163:164]
	v_add3_u32 v101, 0, v10, v11
	v_fma_f64 v[173:174], v[213:214], 2.0, -v[165:166]
	v_fma_f64 v[175:176], v[215:216], 2.0, -v[167:168]
	;; [unrolled: 1-line block ×7, first 2 shown]
	ds_write2_b64 v58, v[60:61], v[30:31] offset1:60
	ds_write2_b64 v75, v[40:41], v[50:51] offset1:60
	;; [unrolled: 1-line block ×5, first 2 shown]
	s_waitcnt lgkmcnt(0)
	s_barrier
	ds_read2st64_b64 v[10:13], v85 offset1:30
	ds_read2st64_b64 v[30:33], v85 offset0:32 offset1:34
	ds_read_b64 v[187:188], v81
	ds_read_b64 v[189:190], v82
	ds_read2st64_b64 v[34:37], v85 offset0:36 offset1:38
	ds_read_b64 v[191:192], v86
	ds_read2st64_b64 v[38:41], v85 offset0:40 offset1:42
	ds_read2st64_b64 v[42:45], v85 offset0:44 offset1:46
	ds_read_b64 v[193:194], v90
	ds_read_b64 v[195:196], v91
	;; [unrolled: 1-line block ×4, first 2 shown]
	ds_read2st64_b64 v[46:49], v85 offset0:48 offset1:50
	ds_read_b64 v[201:202], v89
	ds_read_b64 v[203:204], v88
	;; [unrolled: 1-line block ×3, first 2 shown]
	ds_read2st64_b64 v[50:53], v85 offset0:52 offset1:54
	ds_read2st64_b64 v[59:62], v85 offset0:56 offset1:58
	ds_read_b64 v[207:208], v21
	ds_read_b64 v[209:210], v22
	;; [unrolled: 1-line block ×4, first 2 shown]
	s_waitcnt lgkmcnt(0)
	s_barrier
	ds_write2_b64 v16, v[96:97], v[76:77] offset1:60
	ds_write2_b64 v18, v[78:79], v[102:103] offset1:60
	;; [unrolled: 1-line block ×15, first 2 shown]
	v_lshrrev_b16_e32 v16, 14, v8
	v_mul_lo_u16_e32 v8, 0x78, v16
	v_sub_u16_e32 v56, v140, v8
	v_lshlrev_b32_sdwa v7, v7, v56 dst_sel:DWORD dst_unused:UNUSED_PAD src0_sel:DWORD src1_sel:BYTE_0
	v_lshrrev_b32_e32 v127, 22, v9
	s_waitcnt lgkmcnt(0)
	s_barrier
	global_load_dwordx4 v[63:66], v7, s[12:13] offset:1760
	v_mul_lo_u16_e32 v7, 0x78, v127
	v_sub_u16_e32 v130, v134, v7
	v_lshlrev_b32_e32 v7, 4, v130
	global_load_dwordx4 v[67:70], v7, s[12:13] offset:1760
	v_lshrrev_b32_e32 v132, 22, v2
	v_mul_lo_u16_e32 v7, 0x78, v132
	v_sub_u16_e32 v137, v145, v7
	v_lshlrev_b32_e32 v7, 4, v137
	v_lshrrev_b32_e32 v139, 22, v3
	global_load_dwordx4 v[71:74], v7, s[12:13] offset:1760
	v_mul_lo_u16_e32 v7, 0x78, v139
	v_sub_u16_e32 v223, v147, v7
	v_add_u32_e32 v14, 0xffffff88, v0
	v_lshlrev_b32_e32 v7, 4, v223
	v_cndmask_b32_e64 v57, v14, v0, s[0:1]
	v_mov_b32_e32 v58, 0
	global_load_dwordx4 v[75:78], v7, s[12:13] offset:1760
	v_lshlrev_b64 v[14:15], 4, v[57:58]
	v_mov_b32_e32 v18, s13
	v_add_co_u32_e64 v7, s[0:1], s12, v14
	v_addc_co_u32_e64 v8, s[0:1], v18, v15, s[0:1]
	v_lshrrev_b32_e32 v224, 22, v4
	global_load_dwordx4 v[94:97], v[7:8], off offset:1760
	v_mul_lo_u16_e32 v7, 0x78, v224
	v_sub_u16_e32 v225, v149, v7
	v_lshlrev_b32_e32 v7, 4, v225
	global_load_dwordx4 v[98:101], v7, s[12:13] offset:1760
	v_lshrrev_b32_e32 v226, 22, v5
	v_mul_lo_u16_e32 v7, 0x78, v226
	v_sub_u16_e32 v227, v143, v7
	v_lshrrev_b32_e32 v228, 22, v17
	v_lshlrev_b32_e32 v7, 4, v227
	v_mul_lo_u16_e32 v8, 0x78, v228
	v_sub_u16_e32 v229, v128, v8
	global_load_dwordx4 v[102:105], v7, s[12:13] offset:1760
	v_lshlrev_b32_e32 v7, 4, v229
	v_lshrrev_b32_e32 v230, 22, v29
	global_load_dwordx4 v[106:109], v7, s[12:13] offset:1760
	v_mul_lo_u16_e32 v7, 0x78, v230
	v_lshrrev_b32_e32 v232, 22, v28
	v_sub_u16_e32 v231, v133, v7
	v_mul_lo_u16_e32 v8, 0x78, v232
	v_lshlrev_b32_e32 v7, 4, v231
	v_sub_u16_e32 v233, v126, v8
	v_lshrrev_b32_e32 v234, 22, v27
	v_lshlrev_b32_e32 v8, 4, v233
	global_load_dwordx4 v[110:113], v7, s[12:13] offset:1760
	global_load_dwordx4 v[114:117], v8, s[12:13] offset:1760
	v_mul_lo_u16_e32 v7, 0x78, v234
	v_sub_u16_e32 v235, v131, v7
	v_lshlrev_b32_e32 v7, 4, v235
	v_lshrrev_b32_e32 v236, 22, v19
	global_load_dwordx4 v[118:121], v7, s[12:13] offset:1760
	v_mul_lo_u16_e32 v7, 0x78, v236
	v_sub_u16_e32 v237, v138, v7
	v_lshlrev_b32_e32 v7, 4, v237
	v_lshrrev_b32_e32 v238, 22, v26
	global_load_dwordx4 v[151:154], v7, s[12:13] offset:1760
	v_mul_lo_u16_e32 v7, 0x78, v238
	v_lshrrev_b32_e32 v240, 22, v25
	v_sub_u16_e32 v239, v129, v7
	v_mul_lo_u16_e32 v8, 0x78, v240
	v_lshlrev_b32_e32 v7, 4, v239
	v_sub_u16_e32 v241, v136, v8
	global_load_dwordx4 v[155:158], v7, s[12:13] offset:1760
	v_lshlrev_b32_e32 v7, 4, v241
	global_load_dwordx4 v[159:162], v7, s[12:13] offset:1760
	v_lshrrev_b32_e32 v242, 22, v20
	v_mul_lo_u16_e32 v7, 0x78, v242
	v_sub_u16_e32 v243, v142, v7
	v_lshlrev_b32_e32 v7, 4, v243
	global_load_dwordx4 v[163:166], v7, s[12:13] offset:1760
	ds_read2st64_b64 v[167:170], v85 offset0:32 offset1:34
	ds_read2st64_b64 v[171:174], v85 offset1:30
	ds_read_b64 v[7:8], v81
	ds_read_b64 v[54:55], v82
	ds_read2st64_b64 v[175:178], v85 offset0:36 offset1:38
	ds_read_b64 v[215:216], v86
	ds_read2st64_b64 v[179:182], v85 offset0:40 offset1:42
	ds_read2st64_b64 v[183:186], v85 offset0:44 offset1:46
	s_movk_i32 s0, 0x77
	v_cmp_lt_u32_e64 s[0:1], s0, v0
	v_lshlrev_b32_e32 v57, 3, v57
	v_lshlrev_b32_sdwa v6, v6, v56 dst_sel:DWORD dst_unused:UNUSED_PAD src0_sel:DWORD src1_sel:BYTE_0
	s_waitcnt vmcnt(14) lgkmcnt(7)
	v_mul_f64 v[14:15], v[167:168], v[65:66]
	v_mul_f64 v[65:66], v[30:31], v[65:66]
	v_lshrrev_b32_e32 v5, 23, v5
	v_mul_lo_u16_e32 v5, 0xf0, v5
	s_waitcnt vmcnt(13)
	v_mul_f64 v[79:80], v[169:170], v[69:70]
	v_mul_f64 v[69:70], v[32:33], v[69:70]
	v_fma_f64 v[217:218], v[30:31], v[63:64], v[14:15]
	v_fma_f64 v[63:64], v[167:168], v[63:64], -v[65:66]
	s_waitcnt vmcnt(12) lgkmcnt(3)
	v_mul_f64 v[14:15], v[175:176], v[73:74]
	v_fma_f64 v[65:66], v[32:33], v[67:68], v[79:80]
	v_fma_f64 v[67:68], v[169:170], v[67:68], -v[69:70]
	v_mul_f64 v[69:70], v[34:35], v[73:74]
	ds_read_b64 v[79:80], v90
	ds_read_b64 v[167:168], v91
	;; [unrolled: 1-line block ×4, first 2 shown]
	ds_read2st64_b64 v[30:33], v85 offset0:48 offset1:50
	s_waitcnt vmcnt(11)
	v_mul_f64 v[73:74], v[177:178], v[77:78]
	v_mul_f64 v[77:78], v[36:37], v[77:78]
	v_fma_f64 v[221:222], v[34:35], v[71:72], v[14:15]
	v_add_f64 v[63:64], v[7:8], -v[63:64]
	v_add_f64 v[65:66], v[189:190], -v[65:66]
	v_fma_f64 v[69:70], v[175:176], v[71:72], -v[69:70]
	v_add_f64 v[67:68], v[54:55], -v[67:68]
	s_waitcnt vmcnt(10)
	v_mul_f64 v[14:15], v[173:174], v[96:97]
	v_mul_f64 v[34:35], v[12:13], v[96:97]
	v_fma_f64 v[71:72], v[36:37], v[75:76], v[73:74]
	v_fma_f64 v[73:74], v[177:178], v[75:76], -v[77:78]
	s_waitcnt vmcnt(9) lgkmcnt(6)
	v_mul_f64 v[36:37], v[179:180], v[100:101]
	v_mul_f64 v[75:76], v[38:39], v[100:101]
	ds_read_b64 v[96:97], v89
	ds_read_b64 v[100:101], v88
	ds_read_b64 v[175:176], v87
	v_fma_f64 v[54:55], v[54:55], 2.0, -v[67:68]
	v_fma_f64 v[177:178], v[12:13], v[94:95], v[14:15]
	v_fma_f64 v[94:95], v[173:174], v[94:95], -v[34:35]
	ds_read2st64_b64 v[12:15], v85 offset0:52 offset1:54
	v_add_f64 v[71:72], v[201:202], -v[71:72]
	s_waitcnt vmcnt(8)
	v_mul_f64 v[77:78], v[181:182], v[104:105]
	v_mul_f64 v[104:105], v[40:41], v[104:105]
	v_fma_f64 v[38:39], v[38:39], v[98:99], v[36:37]
	s_waitcnt vmcnt(7) lgkmcnt(9)
	v_mul_f64 v[34:35], v[183:184], v[108:109]
	v_mul_f64 v[36:37], v[42:43], v[108:109]
	v_fma_f64 v[75:76], v[179:180], v[98:99], -v[75:76]
	v_add_f64 v[94:95], v[171:172], -v[94:95]
	s_waitcnt lgkmcnt(2)
	v_add_f64 v[69:70], v[100:101], -v[69:70]
	v_fma_f64 v[40:41], v[40:41], v[102:103], v[77:78]
	v_fma_f64 v[77:78], v[181:182], v[102:103], -v[104:105]
	v_add_f64 v[38:39], v[191:192], -v[38:39]
	s_waitcnt vmcnt(6)
	v_mul_f64 v[98:99], v[185:186], v[112:113]
	v_mul_f64 v[102:103], v[44:45], v[112:113]
	s_waitcnt vmcnt(5)
	v_mul_f64 v[104:105], v[30:31], v[116:117]
	v_mul_f64 v[108:109], v[46:47], v[116:117]
	v_fma_f64 v[42:43], v[42:43], v[106:107], v[34:35]
	v_fma_f64 v[106:107], v[183:184], v[106:107], -v[36:37]
	s_waitcnt vmcnt(4)
	v_mul_f64 v[112:113], v[32:33], v[120:121]
	ds_read2st64_b64 v[34:37], v85 offset0:56 offset1:58
	v_fma_f64 v[44:45], v[44:45], v[110:111], v[98:99]
	v_fma_f64 v[98:99], v[185:186], v[110:111], -v[102:103]
	v_fma_f64 v[46:47], v[46:47], v[114:115], v[104:105]
	v_fma_f64 v[30:31], v[30:31], v[114:115], -v[108:109]
	s_waitcnt vmcnt(3) lgkmcnt(1)
	v_mul_f64 v[104:105], v[12:13], v[153:154]
	v_mul_f64 v[108:109], v[50:51], v[153:154]
	v_fma_f64 v[102:103], v[48:49], v[118:119], v[112:113]
	v_mul_f64 v[48:49], v[48:49], v[120:121]
	v_add_f64 v[40:41], v[193:194], -v[40:41]
	v_add_f64 v[42:43], v[195:196], -v[42:43]
	s_waitcnt vmcnt(2)
	v_mul_f64 v[110:111], v[14:15], v[157:158]
	v_mul_f64 v[112:113], v[52:53], v[157:158]
	s_waitcnt vmcnt(1) lgkmcnt(0)
	v_mul_f64 v[114:115], v[34:35], v[161:162]
	v_mul_f64 v[116:117], v[59:60], v[161:162]
	v_fma_f64 v[12:13], v[12:13], v[151:152], -v[108:109]
	v_fma_f64 v[32:33], v[32:33], v[118:119], -v[48:49]
	v_fma_f64 v[48:49], v[50:51], v[151:152], v[104:105]
	v_add_f64 v[108:109], v[10:11], -v[177:178]
	v_fma_f64 v[50:51], v[52:53], v[155:156], v[110:111]
	v_add_f64 v[110:111], v[187:188], -v[217:218]
	v_fma_f64 v[52:53], v[59:60], v[159:160], v[114:115]
	s_waitcnt vmcnt(0)
	v_mul_f64 v[59:60], v[36:37], v[165:166]
	v_add_f64 v[114:115], v[203:204], -v[221:222]
	v_fma_f64 v[34:35], v[34:35], v[159:160], -v[116:117]
	v_mul_f64 v[104:105], v[61:62], v[165:166]
	v_fma_f64 v[9:10], v[10:11], 2.0, -v[108:109]
	ds_read_b64 v[120:121], v21
	ds_read_b64 v[153:154], v22
	;; [unrolled: 1-line block ×4, first 2 shown]
	v_fma_f64 v[14:15], v[14:15], v[155:156], -v[112:113]
	v_fma_f64 v[112:113], v[7:8], 2.0, -v[63:64]
	v_fma_f64 v[59:60], v[61:62], v[163:164], v[59:60]
	v_fma_f64 v[61:62], v[187:188], 2.0, -v[110:111]
	v_fma_f64 v[7:8], v[189:190], 2.0, -v[65:66]
	s_waitcnt lgkmcnt(3)
	v_add_f64 v[179:180], v[120:121], -v[12:13]
	v_mov_b32_e32 v13, 0x780
	v_fma_f64 v[116:117], v[203:204], 2.0, -v[114:115]
	v_fma_f64 v[118:119], v[201:202], 2.0, -v[71:72]
	v_cndmask_b32_e64 v13, 0, v13, s[0:1]
	v_add3_u32 v57, 0, v13, v57
	v_fma_f64 v[36:37], v[36:37], v[163:164], -v[104:105]
	v_add_f64 v[106:107], v[167:168], -v[106:107]
	v_add_f64 v[44:45], v[197:198], -v[44:45]
	;; [unrolled: 1-line block ×8, first 2 shown]
	s_waitcnt lgkmcnt(1)
	v_add_f64 v[52:53], v[157:158], -v[34:35]
	v_add_f64 v[34:35], v[213:214], -v[59:60]
	s_waitcnt lgkmcnt(0)
	s_barrier
	ds_write2_b64 v57, v[9:10], v[108:109] offset1:120
	v_mul_u32_u24_e32 v9, 0x780, v16
	v_add3_u32 v16, 0, v9, v6
	v_mul_u32_u24_e32 v6, 0x780, v127
	v_lshlrev_b32_e32 v9, 3, v130
	v_add3_u32 v56, 0, v6, v9
	ds_write2_b64 v16, v[61:62], v[110:111] offset1:120
	ds_write2_b64 v56, v[7:8], v[65:66] offset1:120
	v_mul_u32_u24_e32 v6, 0x780, v132
	v_lshlrev_b32_e32 v7, 3, v137
	v_add_f64 v[73:74], v[96:97], -v[73:74]
	v_add3_u32 v65, 0, v6, v7
	v_mul_u32_u24_e32 v6, 0x780, v139
	v_lshlrev_b32_e32 v7, 3, v223
	v_add_f64 v[75:76], v[215:216], -v[75:76]
	v_add3_u32 v66, 0, v6, v7
	v_mul_u32_u24_e32 v6, 0x780, v224
	v_lshlrev_b32_e32 v7, 3, v225
	v_add_f64 v[77:78], v[79:80], -v[77:78]
	ds_write2_b64 v65, v[116:117], v[114:115] offset1:120
	ds_write2_b64 v66, v[118:119], v[71:72] offset1:120
	v_add3_u32 v71, 0, v6, v7
	v_mul_u32_u24_e32 v6, 0x780, v226
	v_lshlrev_b32_e32 v7, 3, v227
	v_add3_u32 v72, 0, v6, v7
	v_mul_u32_u24_e32 v6, 0x780, v228
	v_lshlrev_b32_e32 v7, 3, v229
	v_fma_f64 v[104:105], v[171:172], 2.0, -v[94:95]
	v_fma_f64 v[151:152], v[191:192], 2.0, -v[38:39]
	;; [unrolled: 1-line block ×3, first 2 shown]
	v_add_f64 v[98:99], v[169:170], -v[98:99]
	v_add_f64 v[102:103], v[175:176], -v[32:33]
	v_fma_f64 v[32:33], v[195:196], 2.0, -v[42:43]
	v_fma_f64 v[165:166], v[167:168], 2.0, -v[106:107]
	;; [unrolled: 1-line block ×5, first 2 shown]
	v_add_f64 v[14:15], v[153:154], -v[14:15]
	v_add_f64 v[181:182], v[161:162], -v[36:37]
	v_fma_f64 v[36:37], v[207:208], 2.0, -v[48:49]
	v_fma_f64 v[59:60], v[209:210], 2.0, -v[11:12]
	;; [unrolled: 1-line block ×4, first 2 shown]
	v_add3_u32 v108, 0, v6, v7
	v_mul_u32_u24_e32 v6, 0x780, v230
	v_lshlrev_b32_e32 v7, 3, v231
	v_add3_u32 v109, 0, v6, v7
	v_mul_u32_u24_e32 v6, 0x780, v232
	v_lshlrev_b32_e32 v7, 3, v233
	;; [unrolled: 3-line block ×3, first 2 shown]
	v_fma_f64 v[100:101], v[100:101], 2.0, -v[69:70]
	v_add3_u32 v111, 0, v6, v7
	v_mul_u32_u24_e32 v6, 0x780, v236
	v_lshlrev_b32_e32 v7, 3, v237
	v_fma_f64 v[96:97], v[96:97], 2.0, -v[73:74]
	v_add3_u32 v114, 0, v6, v7
	v_mul_u32_u24_e32 v6, 0x780, v238
	v_lshlrev_b32_e32 v7, 3, v239
	;; [unrolled: 4-line block ×4, first 2 shown]
	v_add3_u32 v117, 0, v6, v7
	s_movk_i32 s0, 0xf0
	v_fma_f64 v[169:170], v[169:170], 2.0, -v[98:99]
	v_fma_f64 v[173:174], v[219:220], 2.0, -v[163:164]
	;; [unrolled: 1-line block ×7, first 2 shown]
	ds_write2_b64 v71, v[151:152], v[38:39] offset1:120
	ds_write2_b64 v72, v[159:160], v[40:41] offset1:120
	ds_write2_b64 v108, v[32:33], v[42:43] offset1:120
	ds_write2_b64 v109, v[167:168], v[44:45] offset1:120
	ds_write2_b64 v110, v[171:172], v[46:47] offset1:120
	ds_write2_b64 v111, v[177:178], v[30:31] offset1:120
	ds_write2_b64 v114, v[36:37], v[48:49] offset1:120
	ds_write2_b64 v115, v[59:60], v[11:12] offset1:120
	ds_write2_b64 v116, v[183:184], v[50:51] offset1:120
	ds_write2_b64 v117, v[185:186], v[34:35] offset1:120
	s_waitcnt lgkmcnt(0)
	s_barrier
	ds_read2st64_b64 v[6:9], v85 offset1:30
	ds_read2st64_b64 v[10:13], v85 offset0:32 offset1:34
	ds_read_b64 v[50:51], v81
	ds_read_b64 v[187:188], v82
	ds_read2st64_b64 v[30:33], v85 offset0:36 offset1:38
	ds_read_b64 v[189:190], v86
	ds_read2st64_b64 v[34:37], v85 offset0:40 offset1:42
	ds_read2st64_b64 v[38:41], v85 offset0:44 offset1:46
	ds_read_b64 v[191:192], v90
	ds_read_b64 v[193:194], v91
	;; [unrolled: 1-line block ×4, first 2 shown]
	ds_read2st64_b64 v[42:45], v85 offset0:48 offset1:50
	ds_read_b64 v[199:200], v89
	ds_read_b64 v[201:202], v88
	;; [unrolled: 1-line block ×3, first 2 shown]
	ds_read2st64_b64 v[46:49], v85 offset0:52 offset1:54
	ds_read2st64_b64 v[59:62], v85 offset0:56 offset1:58
	ds_read_b64 v[205:206], v21
	ds_read_b64 v[207:208], v22
	;; [unrolled: 1-line block ×4, first 2 shown]
	s_waitcnt lgkmcnt(0)
	s_barrier
	ds_write2_b64 v57, v[104:105], v[94:95] offset1:120
	ds_write2_b64 v16, v[112:113], v[63:64] offset1:120
	;; [unrolled: 1-line block ×15, first 2 shown]
	v_lshlrev_b64 v[14:15], 4, v[0:1]
	v_add_u32_e32 v1, 0xffffff90, v0
	v_cmp_gt_u32_e64 s[0:1], s0, v140
	v_cndmask_b32_e64 v57, v1, v140, s[0:1]
	v_lshlrev_b64 v[52:53], 4, v[57:58]
	s_waitcnt lgkmcnt(0)
	v_add_co_u32_e64 v52, s[0:1], s12, v52
	v_addc_co_u32_e64 v53, s[0:1], v18, v53, s[0:1]
	s_barrier
	global_load_dwordx4 v[63:66], v[52:53], off offset:3680
	v_add_co_u32_e64 v53, s[0:1], s12, v14
	v_addc_co_u32_e64 v54, s[0:1], v18, v15, s[0:1]
	global_load_dwordx4 v[67:70], v[53:54], off offset:3936
	v_lshrrev_b32_e32 v16, 23, v2
	v_mul_lo_u16_e32 v1, 0xf0, v16
	v_sub_u16_e32 v52, v145, v1
	v_lshlrev_b32_e32 v1, 4, v52
	global_load_dwordx4 v[71:74], v1, s[12:13] offset:3680
	v_lshrrev_b32_e32 v1, 23, v3
	v_mul_lo_u16_e32 v1, 0xf0, v1
	v_sub_u16_e32 v127, v147, v1
	v_lshlrev_b32_e32 v1, 4, v127
	global_load_dwordx4 v[75:78], v1, s[12:13] offset:3680
	global_load_dwordx4 v[94:97], v[53:54], off offset:3680
	v_lshrrev_b32_e32 v130, 23, v4
	v_mul_lo_u16_e32 v1, 0xf0, v130
	v_sub_u16_e32 v132, v149, v1
	v_sub_u16_e32 v137, v143, v5
	v_lshlrev_b32_e32 v1, 4, v132
	v_lshlrev_b32_e32 v5, 4, v137
	global_load_dwordx4 v[1:4], v1, s[12:13] offset:3680
	v_lshrrev_b32_e32 v139, 23, v17
	global_load_dwordx4 v[98:101], v5, s[12:13] offset:3680
	v_mul_lo_u16_e32 v14, 0xf0, v139
	v_sub_u16_e32 v233, v128, v14
	v_lshlrev_b32_e32 v5, 4, v233
	global_load_dwordx4 v[102:105], v5, s[12:13] offset:3680
	v_lshrrev_b32_e32 v5, 23, v29
	v_mul_lo_u16_e32 v5, 0xf0, v5
	v_lshrrev_b32_e32 v235, 23, v28
	v_sub_u16_e32 v234, v133, v5
	v_mul_lo_u16_e32 v14, 0xf0, v235
	v_lshlrev_b32_e32 v5, 4, v234
	v_sub_u16_e32 v236, v126, v14
	v_lshlrev_b32_e32 v14, 4, v236
	global_load_dwordx4 v[106:109], v5, s[12:13] offset:3680
	global_load_dwordx4 v[110:113], v14, s[12:13] offset:3680
	v_lshrrev_b32_e32 v5, 23, v27
	v_mul_lo_u16_e32 v5, 0xf0, v5
	v_lshrrev_b32_e32 v238, 23, v19
	v_sub_u16_e32 v237, v131, v5
	v_mul_lo_u16_e32 v14, 0xf0, v238
	v_lshlrev_b32_e32 v5, 4, v237
	v_sub_u16_e32 v239, v138, v14
	v_lshlrev_b32_e32 v14, 4, v239
	global_load_dwordx4 v[114:117], v5, s[12:13] offset:3680
	global_load_dwordx4 v[118:121], v14, s[12:13] offset:3680
	v_lshrrev_b32_e32 v5, 23, v26
	v_mul_lo_u16_e32 v5, 0xf0, v5
	v_lshrrev_b32_e32 v241, 23, v25
	v_sub_u16_e32 v240, v129, v5
	v_mul_lo_u16_e32 v14, 0xf0, v241
	v_lshlrev_b32_e32 v5, 4, v240
	v_sub_u16_e32 v242, v136, v14
	global_load_dwordx4 v[151:154], v5, s[12:13] offset:3680
	v_lshlrev_b32_e32 v5, 4, v242
	global_load_dwordx4 v[155:158], v5, s[12:13] offset:3680
	v_lshrrev_b32_e32 v5, 23, v20
	v_mul_lo_u16_e32 v5, 0xf0, v5
	v_sub_u16_e32 v243, v142, v5
	v_lshlrev_b32_e32 v5, 4, v243
	global_load_dwordx4 v[159:162], v5, s[12:13] offset:3680
	ds_read2st64_b64 v[163:166], v85 offset1:30
	ds_read2st64_b64 v[167:170], v85 offset0:32 offset1:34
	ds_read_b64 v[14:15], v81
	ds_read_b64 v[55:56], v82
	ds_read2st64_b64 v[171:174], v85 offset0:36 offset1:38
	ds_read_b64 v[79:80], v86
	ds_read2st64_b64 v[175:178], v85 offset0:40 offset1:42
	ds_read2st64_b64 v[179:182], v85 offset0:44 offset1:46
	ds_read_b64 v[217:218], v90
	ds_read_b64 v[219:220], v91
	ds_read_b64 v[221:222], v92
	ds_read_b64 v[223:224], v93
	ds_read2st64_b64 v[183:186], v85 offset0:48 offset1:50
	ds_read_b64 v[227:228], v89
	ds_read_b64 v[229:230], v88
	;; [unrolled: 1-line block ×3, first 2 shown]
	s_movk_i32 s0, 0xef
	v_cmp_lt_u32_e64 s[0:1], s0, v140
	v_mul_lo_u16_sdwa v29, v29, s5 dst_sel:DWORD dst_unused:UNUSED_PAD src0_sel:BYTE_3 src1_sel:DWORD
	v_mul_lo_u16_sdwa v28, v28, s5 dst_sel:DWORD dst_unused:UNUSED_PAD src0_sel:BYTE_3 src1_sel:DWORD
	;; [unrolled: 1-line block ×6, first 2 shown]
	v_sub_u16_e32 v20, v142, v20
	s_waitcnt vmcnt(14) lgkmcnt(14)
	v_mul_f64 v[213:214], v[167:168], v[65:66]
	v_mul_f64 v[65:66], v[10:11], v[65:66]
	s_waitcnt vmcnt(13)
	v_mul_f64 v[215:216], v[169:170], v[69:70]
	v_fma_f64 v[213:214], v[10:11], v[63:64], v[213:214]
	v_mul_f64 v[10:11], v[12:13], v[69:70]
	v_fma_f64 v[167:168], v[167:168], v[63:64], -v[65:66]
	v_fma_f64 v[69:70], v[12:13], v[67:68], v[215:216]
	s_waitcnt vmcnt(12) lgkmcnt(11)
	v_mul_f64 v[215:216], v[171:172], v[73:74]
	v_mul_f64 v[73:74], v[30:31], v[73:74]
	s_waitcnt vmcnt(11)
	v_mul_f64 v[225:226], v[173:174], v[77:78]
	v_mul_f64 v[77:78], v[32:33], v[77:78]
	v_fma_f64 v[67:68], v[169:170], v[67:68], -v[10:11]
	ds_read2st64_b64 v[10:13], v85 offset0:52 offset1:54
	ds_read2st64_b64 v[63:66], v85 offset0:56 offset1:58
	v_add_f64 v[69:70], v[187:188], -v[69:70]
	v_fma_f64 v[30:31], v[30:31], v[71:72], v[215:216]
	v_fma_f64 v[71:72], v[171:172], v[71:72], -v[73:74]
	v_fma_f64 v[32:33], v[32:33], v[75:76], v[225:226]
	v_fma_f64 v[73:74], v[173:174], v[75:76], -v[77:78]
	s_waitcnt vmcnt(9) lgkmcnt(11)
	v_mul_f64 v[75:76], v[175:176], v[3:4]
	v_mul_f64 v[3:4], v[34:35], v[3:4]
	s_waitcnt vmcnt(8)
	v_mul_f64 v[77:78], v[177:178], v[100:101]
	v_mul_f64 v[100:101], v[36:37], v[100:101]
	;; [unrolled: 1-line block ×3, first 2 shown]
	v_add_f64 v[30:31], v[201:202], -v[30:31]
	v_add_f64 v[32:33], v[199:200], -v[32:33]
	ds_read_b64 v[169:170], v21
	ds_read_b64 v[171:172], v22
	;; [unrolled: 1-line block ×4, first 2 shown]
	v_fma_f64 v[34:35], v[34:35], v[1:2], v[75:76]
	v_fma_f64 v[1:2], v[175:176], v[1:2], -v[3:4]
	v_mul_f64 v[3:4], v[8:9], v[96:97]
	v_fma_f64 v[36:37], v[36:37], v[98:99], v[77:78]
	v_fma_f64 v[75:76], v[177:178], v[98:99], -v[100:101]
	s_waitcnt vmcnt(6) lgkmcnt(14)
	v_mul_f64 v[98:99], v[181:182], v[108:109]
	v_mul_f64 v[100:101], v[40:41], v[108:109]
	;; [unrolled: 1-line block ×4, first 2 shown]
	s_waitcnt vmcnt(5) lgkmcnt(9)
	v_mul_f64 v[104:105], v[183:184], v[112:113]
	v_mul_f64 v[108:109], v[42:43], v[112:113]
	v_fma_f64 v[8:9], v[8:9], v[94:95], v[225:226]
	v_fma_f64 v[3:4], v[165:166], v[94:95], -v[3:4]
	v_fma_f64 v[40:41], v[40:41], v[106:107], v[98:99]
	v_fma_f64 v[94:95], v[181:182], v[106:107], -v[100:101]
	s_waitcnt vmcnt(4)
	v_mul_f64 v[98:99], v[185:186], v[116:117]
	v_mul_f64 v[100:101], v[44:45], v[116:117]
	v_fma_f64 v[42:43], v[42:43], v[110:111], v[104:105]
	s_waitcnt vmcnt(3)
	v_mul_f64 v[104:105], v[46:47], v[120:121]
	v_fma_f64 v[38:39], v[38:39], v[102:103], v[77:78]
	v_fma_f64 v[77:78], v[179:180], v[102:103], -v[96:97]
	s_waitcnt lgkmcnt(5)
	v_mul_f64 v[102:103], v[10:11], v[120:121]
	s_waitcnt vmcnt(2)
	v_mul_f64 v[106:107], v[12:13], v[153:154]
	v_fma_f64 v[96:97], v[183:184], v[110:111], -v[108:109]
	s_waitcnt vmcnt(1) lgkmcnt(4)
	v_mul_f64 v[110:111], v[63:64], v[157:158]
	v_add_f64 v[8:9], v[6:7], -v[8:9]
	v_mul_f64 v[108:109], v[48:49], v[153:154]
	v_fma_f64 v[44:45], v[44:45], v[114:115], v[98:99]
	v_fma_f64 v[98:99], v[185:186], v[114:115], -v[100:101]
	s_waitcnt vmcnt(0)
	v_mul_f64 v[100:101], v[65:66], v[161:162]
	v_fma_f64 v[10:11], v[10:11], v[118:119], -v[104:105]
	v_add_f64 v[104:105], v[163:164], -v[3:4]
	v_add_f64 v[3:4], v[50:51], -v[213:214]
	v_fma_f64 v[46:47], v[46:47], v[118:119], v[102:103]
	v_fma_f64 v[48:49], v[48:49], v[151:152], v[106:107]
	v_mul_f64 v[102:103], v[61:62], v[161:162]
	v_add_f64 v[106:107], v[14:15], -v[167:168]
	v_add_f64 v[34:35], v[189:190], -v[34:35]
	v_mul_f64 v[112:113], v[59:60], v[157:158]
	v_fma_f64 v[59:60], v[59:60], v[155:156], v[110:111]
	v_fma_f64 v[5:6], v[6:7], 2.0, -v[8:9]
	v_add_f64 v[110:111], v[79:80], -v[1:2]
	v_add_f64 v[1:2], v[191:192], -v[36:37]
	v_fma_f64 v[12:13], v[12:13], v[151:152], -v[108:109]
	v_fma_f64 v[61:62], v[61:62], v[159:160], v[100:101]
	v_fma_f64 v[50:51], v[50:51], 2.0, -v[3:4]
	v_add_f64 v[108:109], v[55:56], -v[67:68]
	v_fma_f64 v[65:66], v[65:66], v[159:160], -v[102:103]
	v_fma_f64 v[102:103], v[14:15], 2.0, -v[106:107]
	v_fma_f64 v[14:15], v[187:188], 2.0, -v[69:70]
	;; [unrolled: 1-line block ×5, first 2 shown]
	v_add_f64 v[38:39], v[193:194], -v[38:39]
	v_add_f64 v[40:41], v[195:196], -v[40:41]
	;; [unrolled: 1-line block ×3, first 2 shown]
	v_fma_f64 v[118:119], v[191:192], 2.0, -v[1:2]
	s_waitcnt lgkmcnt(0)
	s_barrier
	ds_write2_b64 v85, v[5:6], v[8:9] offset1:240
	v_mov_b32_e32 v5, 0xf00
	v_fma_f64 v[63:64], v[63:64], v[155:156], -v[112:113]
	v_add_f64 v[44:45], v[203:204], -v[44:45]
	v_add_f64 v[46:47], v[205:206], -v[46:47]
	;; [unrolled: 1-line block ×7, first 2 shown]
	v_cndmask_b32_e64 v5, 0, v5, s[0:1]
	v_lshlrev_b32_e32 v6, 3, v57
	v_add3_u32 v42, 0, v5, v6
	ds_write2_b64 v42, v[50:51], v[3:4] offset1:240
	v_mul_u32_u24_e32 v3, 0xf00, v16
	v_lshlrev_b32_e32 v4, 3, v52
	v_add_f64 v[71:72], v[229:230], -v[71:72]
	v_add3_u32 v52, 0, v3, v4
	v_lshl_add_u32 v3, v127, 3, 0
	v_add_f64 v[73:74], v[227:228], -v[73:74]
	v_lshl_add_u32 v43, v0, 3, 0
	v_add_u32_e32 v127, 0x1e00, v3
	v_mul_u32_u24_e32 v3, 0xf00, v130
	v_lshlrev_b32_e32 v4, 3, v132
	v_add_u32_e32 v57, 0xf80, v43
	v_add3_u32 v130, 0, v3, v4
	v_lshl_add_u32 v3, v137, 3, 0
	v_add_f64 v[75:76], v[217:218], -v[75:76]
	v_fma_f64 v[153:154], v[193:194], 2.0, -v[38:39]
	v_fma_f64 v[157:158], v[195:196], 2.0, -v[40:41]
	;; [unrolled: 1-line block ×3, first 2 shown]
	ds_write2_b64 v57, v[14:15], v[69:70] offset1:240
	ds_write2_b64 v52, v[36:37], v[30:31] offset1:240
	;; [unrolled: 1-line block ×4, first 2 shown]
	v_add_u32_e32 v116, 0x2d00, v3
	v_add_f64 v[77:78], v[219:220], -v[77:78]
	ds_write2_b64 v116, v[118:119], v[1:2] offset1:240
	v_mul_u32_u24_e32 v1, 0xf00, v139
	v_lshlrev_b32_e32 v2, 3, v233
	v_fma_f64 v[100:101], v[163:164], 2.0, -v[104:105]
	v_add_f64 v[94:95], v[221:222], -v[94:95]
	v_add_f64 v[96:97], v[223:224], -v[96:97]
	;; [unrolled: 1-line block ×3, first 2 shown]
	v_fma_f64 v[165:166], v[203:204], 2.0, -v[44:45]
	v_add_f64 v[179:180], v[173:174], -v[63:64]
	v_add_f64 v[181:182], v[215:216], -v[65:66]
	v_fma_f64 v[59:60], v[205:206], 2.0, -v[46:47]
	v_fma_f64 v[61:62], v[207:208], 2.0, -v[10:11]
	;; [unrolled: 1-line block ×4, first 2 shown]
	v_add3_u32 v117, 0, v1, v2
	v_lshl_add_u32 v1, v234, 3, 0
	v_add_u32_e32 v118, 0x3c00, v1
	v_mul_u32_u24_e32 v1, 0xf00, v235
	v_lshlrev_b32_e32 v2, 3, v236
	v_fma_f64 v[55:56], v[55:56], 2.0, -v[108:109]
	v_add3_u32 v119, 0, v1, v2
	v_lshl_add_u32 v1, v237, 3, 0
	v_fma_f64 v[112:113], v[229:230], 2.0, -v[71:72]
	v_add_u32_e32 v132, 0x4b00, v1
	v_mul_u32_u24_e32 v1, 0xf00, v238
	v_lshlrev_b32_e32 v2, 3, v239
	v_fma_f64 v[114:115], v[227:228], 2.0, -v[73:74]
	v_add3_u32 v137, 0, v1, v2
	v_lshl_add_u32 v1, v240, 3, 0
	v_fma_f64 v[79:80], v[79:80], 2.0, -v[110:111]
	v_add_u32_e32 v139, 0x5a00, v1
	v_mul_u32_u24_e32 v1, 0xf00, v241
	v_lshlrev_b32_e32 v2, 3, v242
	v_fma_f64 v[120:121], v[217:218], 2.0, -v[75:76]
	ds_write2_b64 v117, v[153:154], v[38:39] offset1:240
	ds_write2_b64 v118, v[157:158], v[40:41] offset1:240
	;; [unrolled: 1-line block ×3, first 2 shown]
	v_add3_u32 v151, 0, v1, v2
	v_lshl_add_u32 v1, v243, 3, 0
	v_fma_f64 v[155:156], v[219:220], 2.0, -v[77:78]
	v_add_u32_e32 v152, 0x6900, v1
	v_fma_f64 v[159:160], v[221:222], 2.0, -v[94:95]
	v_fma_f64 v[163:164], v[223:224], 2.0, -v[96:97]
	;; [unrolled: 1-line block ×7, first 2 shown]
	ds_write2_b64 v132, v[165:166], v[44:45] offset1:240
	ds_write2_b64 v137, v[59:60], v[46:47] offset1:240
	;; [unrolled: 1-line block ×5, first 2 shown]
	s_waitcnt lgkmcnt(0)
	s_barrier
	ds_read2st64_b64 v[30:33], v85 offset1:30
	ds_read2st64_b64 v[34:37], v85 offset0:32 offset1:34
	ds_read_b64 v[203:204], v81
	ds_read_b64 v[205:206], v82
	ds_read2st64_b64 v[38:41], v85 offset0:36 offset1:38
	ds_read_b64 v[207:208], v86
	ds_read2st64_b64 v[44:47], v85 offset0:40 offset1:42
	ds_read2st64_b64 v[48:51], v85 offset0:44 offset1:46
	ds_read_b64 v[209:210], v90
	ds_read_b64 v[13:14], v91
	;; [unrolled: 1-line block ×4, first 2 shown]
	ds_read2st64_b64 v[59:62], v85 offset0:48 offset1:50
	ds_read_b64 v[211:212], v89
	ds_read_b64 v[213:214], v88
	;; [unrolled: 1-line block ×3, first 2 shown]
	ds_read2st64_b64 v[63:66], v85 offset0:52 offset1:54
	ds_read2st64_b64 v[67:70], v85 offset0:56 offset1:58
	ds_read_b64 v[7:8], v21
	ds_read_b64 v[5:6], v22
	ds_read_b64 v[3:4], v23
	ds_read_b64 v[1:2], v24
	s_waitcnt lgkmcnt(0)
	s_barrier
	ds_write2_b64 v85, v[100:101], v[104:105] offset1:240
	ds_write2_b64 v42, v[102:103], v[106:107] offset1:240
	;; [unrolled: 1-line block ×15, first 2 shown]
	v_add_co_u32_e64 v79, s[0:1], s6, v53
	v_lshlrev_b64 v[55:56], 4, v[140:141]
	v_addc_co_u32_e64 v80, s[0:1], 0, v54, s[0:1]
	v_add_co_u32_e64 v55, s[0:1], s12, v55
	v_addc_co_u32_e64 v56, s[0:1], v18, v56, s[0:1]
	v_add_co_u32_e64 v71, s[0:1], s6, v55
	v_lshlrev_b64 v[73:74], 4, v[134:135]
	v_addc_co_u32_e64 v72, s[0:1], 0, v56, s[0:1]
	v_add_co_u32_e64 v94, s[0:1], s12, v73
	v_addc_co_u32_e64 v95, s[0:1], v18, v74, s[0:1]
	v_add_co_u32_e64 v75, s[0:1], s6, v94
	v_addc_co_u32_e64 v76, s[0:1], 0, v95, s[0:1]
	v_add_u32_e32 v42, 0xffffffa0, v0
	v_cmp_gt_u32_e64 s[0:1], s5, v145
	v_cndmask_b32_e64 v57, v42, v145, s[0:1]
	v_lshlrev_b64 v[96:97], 4, v[57:58]
	s_waitcnt lgkmcnt(0)
	v_add_co_u32_e64 v42, s[0:1], s12, v96
	v_addc_co_u32_e64 v52, s[0:1], v18, v97, s[0:1]
	v_add_co_u32_e64 v104, s[0:1], s6, v42
	v_addc_co_u32_e64 v105, s[0:1], 0, v52, s[0:1]
	s_movk_i32 s0, 0x2000
	s_barrier
	global_load_dwordx4 v[71:74], v[71:72], off offset:3424
	s_nop 0
	global_load_dwordx4 v[75:78], v[75:76], off offset:3424
	s_nop 0
	global_load_dwordx4 v[96:99], v[79:80], off offset:3424
	global_load_dwordx4 v[100:103], v[79:80], off offset:3936
	v_add_co_u32_e64 v79, s[0:1], s0, v53
	v_addc_co_u32_e64 v80, s[0:1], 0, v54, s[0:1]
	global_load_dwordx4 v[104:107], v[104:105], off offset:3424
	s_nop 0
	global_load_dwordx4 v[108:111], v[79:80], off offset:1888
	v_add_u32_e32 v79, 0x120, v0
	v_mov_b32_e32 v80, v58
	v_lshlrev_b64 v[79:80], 4, v[79:80]
	v_sub_u16_e32 v127, v126, v28
	v_add_co_u32_e64 v42, s[0:1], s12, v79
	v_addc_co_u32_e64 v52, s[0:1], v18, v80, s[0:1]
	v_add_co_u32_e64 v79, s[0:1], s6, v42
	v_mul_lo_u16_sdwa v42, v17, s5 dst_sel:DWORD dst_unused:UNUSED_PAD src0_sel:BYTE_3 src1_sel:DWORD
	v_sub_u16_e32 v42, v128, v42
	v_addc_co_u32_e64 v80, s[0:1], 0, v52, s[0:1]
	v_lshlrev_b32_e32 v52, 4, v42
	v_add_co_u32_e64 v52, s[0:1], s12, v52
	v_addc_co_u32_e64 v112, s[0:1], 0, v18, s[0:1]
	v_add_co_u32_e64 v116, s[0:1], s6, v52
	v_sub_u16_e32 v52, v133, v29
	v_addc_co_u32_e64 v117, s[0:1], 0, v112, s[0:1]
	v_lshlrev_b32_e32 v29, 4, v52
	v_add_co_u32_e64 v29, s[0:1], s12, v29
	global_load_dwordx4 v[112:115], v[79:80], off offset:3424
	s_nop 0
	global_load_dwordx4 v[116:119], v[116:117], off offset:3424
	v_addc_co_u32_e64 v80, s[0:1], 0, v18, s[0:1]
	v_add_co_u32_e64 v79, s[0:1], s6, v29
	v_addc_co_u32_e64 v80, s[0:1], 0, v80, s[0:1]
	v_lshlrev_b32_e32 v28, 4, v127
	v_add_co_u32_e64 v28, s[0:1], s12, v28
	v_addc_co_u32_e64 v29, s[0:1], 0, v18, s[0:1]
	v_add_co_u32_e64 v28, s[0:1], s6, v28
	v_sub_u16_e32 v130, v131, v27
	v_addc_co_u32_e64 v29, s[0:1], 0, v29, s[0:1]
	v_lshlrev_b32_e32 v27, 4, v130
	v_add_co_u32_e64 v27, s[0:1], s12, v27
	global_load_dwordx4 v[151:154], v[79:80], off offset:3424
	global_load_dwordx4 v[155:158], v[28:29], off offset:3424
	v_addc_co_u32_e64 v28, s[0:1], 0, v18, s[0:1]
	v_mul_lo_u16_sdwa v29, v19, s5 dst_sel:DWORD dst_unused:UNUSED_PAD src0_sel:BYTE_3 src1_sel:DWORD
	v_add_co_u32_e64 v27, s[0:1], s6, v27
	v_sub_u16_e32 v132, v138, v29
	v_addc_co_u32_e64 v28, s[0:1], 0, v28, s[0:1]
	v_lshlrev_b32_e32 v29, 4, v132
	v_add_co_u32_e64 v29, s[0:1], s12, v29
	v_addc_co_u32_e64 v80, s[0:1], 0, v18, s[0:1]
	v_add_co_u32_e64 v79, s[0:1], s6, v29
	v_sub_u16_e32 v135, v129, v26
	v_addc_co_u32_e64 v80, s[0:1], 0, v80, s[0:1]
	v_lshlrev_b32_e32 v26, 4, v135
	v_add_co_u32_e64 v26, s[0:1], s12, v26
	global_load_dwordx4 v[159:162], v[27:28], off offset:3424
	global_load_dwordx4 v[163:166], v[79:80], off offset:3424
	v_addc_co_u32_e64 v27, s[0:1], 0, v18, s[0:1]
	v_add_co_u32_e64 v26, s[0:1], s6, v26
	v_sub_u16_e32 v137, v136, v25
	v_addc_co_u32_e64 v27, s[0:1], 0, v27, s[0:1]
	v_lshlrev_b32_e32 v25, 4, v137
	v_add_co_u32_e64 v25, s[0:1], s12, v25
	v_addc_co_u32_e64 v28, s[0:1], 0, v18, s[0:1]
	v_add_co_u32_e64 v79, s[0:1], s6, v25
	v_addc_co_u32_e64 v80, s[0:1], 0, v28, s[0:1]
	global_load_dwordx4 v[25:28], v[26:27], off offset:3424
	s_nop 0
	global_load_dwordx4 v[167:170], v[79:80], off offset:3424
	v_lshlrev_b32_e32 v29, 4, v20
	v_add_co_u32_e64 v29, s[0:1], s12, v29
	v_addc_co_u32_e64 v80, s[0:1], 0, v18, s[0:1]
	v_add_co_u32_e64 v79, s[0:1], s6, v29
	v_addc_co_u32_e64 v80, s[0:1], 0, v80, s[0:1]
	global_load_dwordx4 v[171:174], v[79:80], off offset:3424
	ds_read2st64_b64 v[175:178], v85 offset1:30
	ds_read2st64_b64 v[179:182], v85 offset0:32 offset1:34
	ds_read_b64 v[120:121], v81
	ds_read_b64 v[215:216], v82
	ds_read2st64_b64 v[183:186], v85 offset0:36 offset1:38
	ds_read_b64 v[217:218], v86
	ds_read2st64_b64 v[187:190], v85 offset0:40 offset1:42
	ds_read2st64_b64 v[191:194], v85 offset0:44 offset1:46
	ds_read_b64 v[219:220], v90
	ds_read_b64 v[221:222], v91
	;; [unrolled: 1-line block ×4, first 2 shown]
	ds_read2st64_b64 v[195:198], v85 offset0:48 offset1:50
	ds_read_b64 v[227:228], v89
	ds_read_b64 v[229:230], v88
	;; [unrolled: 1-line block ×3, first 2 shown]
	s_waitcnt vmcnt(12) lgkmcnt(14)
	v_mul_f64 v[233:234], v[177:178], v[98:99]
	v_mul_f64 v[98:99], v[32:33], v[98:99]
	;; [unrolled: 1-line block ×6, first 2 shown]
	ds_read2st64_b64 v[77:80], v85 offset0:52 offset1:54
	ds_read2st64_b64 v[199:202], v85 offset0:56 offset1:58
	s_movk_i32 s0, 0x1df
	v_fma_f64 v[32:33], v[32:33], v[96:97], v[233:234]
	v_fma_f64 v[96:97], v[177:178], v[96:97], -v[98:99]
	v_fma_f64 v[34:35], v[34:35], v[71:72], v[235:236]
	v_fma_f64 v[71:72], v[179:180], v[71:72], -v[73:74]
	;; [unrolled: 2-line block ×3, first 2 shown]
	s_waitcnt vmcnt(10) lgkmcnt(13)
	v_mul_f64 v[75:76], v[183:184], v[106:107]
	v_mul_f64 v[98:99], v[38:39], v[106:107]
	;; [unrolled: 1-line block ×4, first 2 shown]
	s_waitcnt vmcnt(9) lgkmcnt(11)
	v_mul_f64 v[177:178], v[187:188], v[110:111]
	v_mul_f64 v[110:111], v[44:45], v[110:111]
	v_add_f64 v[96:97], v[175:176], -v[96:97]
	v_add_f64 v[32:33], v[30:31], -v[32:33]
	v_fma_f64 v[38:39], v[38:39], v[104:105], v[75:76]
	v_fma_f64 v[75:76], v[183:184], v[104:105], -v[98:99]
	v_fma_f64 v[40:41], v[40:41], v[100:101], v[106:107]
	v_fma_f64 v[98:99], v[185:186], v[100:101], -v[102:103]
	;; [unrolled: 2-line block ×3, first 2 shown]
	s_waitcnt vmcnt(7) lgkmcnt(10)
	v_mul_f64 v[106:107], v[191:192], v[118:119]
	v_mul_f64 v[108:109], v[48:49], v[118:119]
	s_waitcnt vmcnt(5) lgkmcnt(5)
	v_mul_f64 v[118:119], v[195:196], v[157:158]
	v_mul_f64 v[102:103], v[189:190], v[114:115]
	;; [unrolled: 1-line block ×6, first 2 shown]
	v_fma_f64 v[48:49], v[48:49], v[116:117], v[106:107]
	v_add_f64 v[34:35], v[203:204], -v[34:35]
	v_fma_f64 v[59:60], v[59:60], v[155:156], v[118:119]
	v_fma_f64 v[46:47], v[46:47], v[112:113], v[102:103]
	v_fma_f64 v[102:103], v[189:190], v[112:113], -v[104:105]
	v_fma_f64 v[50:51], v[50:51], v[151:152], v[110:111]
	v_fma_f64 v[106:107], v[193:194], v[151:152], -v[114:115]
	v_fma_f64 v[104:105], v[191:192], v[116:117], -v[108:109]
	;; [unrolled: 1-line block ×3, first 2 shown]
	ds_read_b64 v[179:180], v21
	ds_read_b64 v[181:182], v22
	;; [unrolled: 1-line block ×4, first 2 shown]
	v_add_f64 v[38:39], v[213:214], -v[38:39]
	v_add_f64 v[40:41], v[211:212], -v[40:41]
	;; [unrolled: 1-line block ×4, first 2 shown]
	s_waitcnt vmcnt(4)
	v_mul_f64 v[110:111], v[197:198], v[161:162]
	v_mul_f64 v[112:113], v[61:62], v[161:162]
	s_waitcnt vmcnt(3) lgkmcnt(5)
	v_mul_f64 v[114:115], v[77:78], v[165:166]
	v_mul_f64 v[116:117], v[63:64], v[165:166]
	v_add_f64 v[36:37], v[205:206], -v[36:37]
	v_add_f64 v[48:49], v[13:14], -v[48:49]
	;; [unrolled: 1-line block ×4, first 2 shown]
	v_fma_f64 v[61:62], v[61:62], v[159:160], v[110:111]
	v_fma_f64 v[110:111], v[197:198], v[159:160], -v[112:113]
	v_fma_f64 v[63:64], v[63:64], v[163:164], v[114:115]
	v_fma_f64 v[77:78], v[77:78], v[163:164], -v[116:117]
	v_add_f64 v[71:72], v[120:121], -v[71:72]
	v_fma_f64 v[29:30], v[30:31], 2.0, -v[32:33]
	v_add_f64 v[73:74], v[215:216], -v[73:74]
	v_fma_f64 v[114:115], v[203:204], 2.0, -v[34:35]
	v_add_f64 v[61:62], v[15:16], -v[61:62]
	s_waitcnt vmcnt(2)
	v_mul_f64 v[118:119], v[79:80], v[27:28]
	v_mul_f64 v[27:28], v[65:66], v[27:28]
	s_waitcnt vmcnt(1) lgkmcnt(4)
	v_mul_f64 v[151:152], v[199:200], v[169:170]
	v_mul_f64 v[153:154], v[67:68], v[169:170]
	v_add_f64 v[63:64], v[7:8], -v[63:64]
	v_fma_f64 v[155:156], v[211:212], 2.0, -v[40:41]
	v_fma_f64 v[159:160], v[207:208], 2.0, -v[44:45]
	v_fma_f64 v[163:164], v[209:210], 2.0, -v[46:47]
	v_fma_f64 v[65:66], v[65:66], v[25:26], v[118:119]
	v_fma_f64 v[25:26], v[79:80], v[25:26], -v[27:28]
	v_fma_f64 v[27:28], v[67:68], v[167:168], v[151:152]
	s_waitcnt vmcnt(0)
	v_mul_f64 v[79:80], v[201:202], v[173:174]
	v_mul_f64 v[112:113], v[69:70], v[173:174]
	v_fma_f64 v[67:68], v[199:200], v[167:168], -v[153:154]
	v_fma_f64 v[151:152], v[213:214], 2.0, -v[38:39]
	v_fma_f64 v[118:119], v[205:206], 2.0, -v[36:37]
	v_add_f64 v[65:66], v[5:6], -v[65:66]
	v_add_f64 v[75:76], v[229:230], -v[75:76]
	v_fma_f64 v[13:14], v[13:14], 2.0, -v[48:49]
	v_fma_f64 v[69:70], v[69:70], v[171:172], v[79:80]
	v_fma_f64 v[79:80], v[201:202], v[171:172], -v[112:113]
	v_fma_f64 v[112:113], v[175:176], 2.0, -v[96:97]
	s_waitcnt lgkmcnt(2)
	v_add_f64 v[175:176], v[181:182], -v[25:26]
	v_add_f64 v[25:26], v[3:4], -v[27:28]
	v_fma_f64 v[11:12], v[11:12], 2.0, -v[50:51]
	v_fma_f64 v[9:10], v[9:10], 2.0, -v[59:60]
	v_add_f64 v[98:99], v[227:228], -v[98:99]
	v_add_f64 v[27:28], v[1:2], -v[69:70]
	;; [unrolled: 1-line block ×8, first 2 shown]
	v_fma_f64 v[15:16], v[15:16], 2.0, -v[61:62]
	v_add_f64 v[77:78], v[179:180], -v[77:78]
	s_waitcnt lgkmcnt(1)
	v_add_f64 v[67:68], v[233:234], -v[67:68]
	s_waitcnt lgkmcnt(0)
	v_add_f64 v[69:70], v[235:236], -v[79:80]
	v_fma_f64 v[7:8], v[7:8], 2.0, -v[63:64]
	v_fma_f64 v[5:6], v[5:6], 2.0, -v[65:66]
	;; [unrolled: 1-line block ×5, first 2 shown]
	s_barrier
	ds_write_b64 v85, v[29:30]
	ds_write_b64 v85, v[32:33] offset:3840
	ds_write_b64 v81, v[114:115]
	ds_write_b64 v81, v[34:35] offset:3840
	;; [unrolled: 2-line block ×3, first 2 shown]
	v_mov_b32_e32 v29, 0x1e00
	v_cmp_lt_u32_e64 s[0:1], s0, v145
	s_movk_i32 s5, 0x1e00
	v_cndmask_b32_e64 v29, 0, v29, s[0:1]
	v_lshlrev_b32_e32 v30, 3, v57
	v_fma_f64 v[120:121], v[215:216], 2.0, -v[73:74]
	v_add3_u32 v57, 0, v29, v30
	v_add_u32_e32 v114, 0x100, v43
	v_add_u32_e32 v115, 0x2700, v43
	v_mul_u32_u24_sdwa v17, v17, s5 dst_sel:DWORD dst_unused:UNUSED_PAD src0_sel:BYTE_3 src1_sel:DWORD
	v_lshlrev_b32_e32 v29, 3, v42
	ds_write_b64 v57, v[151:152]
	ds_write_b64 v57, v[38:39] offset:3840
	ds_write2st64_b64 v114, v[155:156], v[159:160] offset0:15 offset1:17
	ds_write2_b64 v115, v[163:164], v[40:41] offset1:224
	ds_write2st64_b64 v43, v[44:45], v[46:47] offset0:25 offset1:27
	v_add3_u32 v17, 0, v17, v29
	v_lshl_add_u32 v44, v52, 3, 0
	v_lshl_add_u32 v118, v127, 3, 0
	v_fma_f64 v[153:154], v[229:230], 2.0, -v[75:76]
	ds_write_b64 v17, v[13:14]
	ds_write_b64 v17, v[48:49] offset:3840
	ds_write_b64 v44, v[11:12] offset:15360
	ds_write_b64 v44, v[50:51] offset:19200
	ds_write_b64 v118, v[9:10] offset:15360
	ds_write_b64 v118, v[59:60] offset:19200
	v_mul_u32_u24_sdwa v9, v19, s5 dst_sel:DWORD dst_unused:UNUSED_PAD src0_sel:BYTE_3 src1_sel:DWORD
	v_lshlrev_b32_e32 v10, 3, v132
	v_lshl_add_u32 v119, v130, 3, 0
	v_add3_u32 v19, 0, v9, v10
	v_lshl_add_u32 v127, v135, 3, 0
	v_lshl_add_u32 v130, v137, 3, 0
	;; [unrolled: 1-line block ×3, first 2 shown]
	s_movk_i32 s5, 0x3000
	v_fma_f64 v[157:158], v[227:228], 2.0, -v[98:99]
	v_fma_f64 v[161:162], v[217:218], 2.0, -v[100:101]
	;; [unrolled: 1-line block ×11, first 2 shown]
	ds_write_b64 v119, v[15:16] offset:15360
	ds_write_b64 v119, v[61:62] offset:19200
	ds_write_b64 v19, v[7:8]
	ds_write_b64 v19, v[63:64] offset:3840
	ds_write_b64 v127, v[5:6] offset:23040
	;; [unrolled: 1-line block ×7, first 2 shown]
	s_waitcnt lgkmcnt(0)
	s_barrier
	ds_read2st64_b64 v[25:28], v85 offset1:30
	ds_read2st64_b64 v[29:32], v85 offset0:32 offset1:34
	ds_read_b64 v[41:42], v81
	ds_read_b64 v[203:204], v82
	ds_read2st64_b64 v[33:36], v85 offset0:36 offset1:38
	ds_read_b64 v[205:206], v86
	ds_read2st64_b64 v[37:40], v85 offset0:40 offset1:42
	ds_read2st64_b64 v[45:48], v85 offset0:44 offset1:46
	ds_read_b64 v[207:208], v90
	ds_read_b64 v[13:14], v91
	ds_read_b64 v[11:12], v92
	ds_read_b64 v[9:10], v93
	ds_read2st64_b64 v[49:52], v85 offset0:48 offset1:50
	ds_read_b64 v[209:210], v89
	ds_read_b64 v[211:212], v88
	;; [unrolled: 1-line block ×3, first 2 shown]
	ds_read2st64_b64 v[59:62], v85 offset0:52 offset1:54
	ds_read2st64_b64 v[63:66], v85 offset0:56 offset1:58
	ds_read_b64 v[7:8], v21
	ds_read_b64 v[5:6], v22
	ds_read_b64 v[3:4], v23
	ds_read_b64 v[1:2], v24
	s_waitcnt lgkmcnt(0)
	s_barrier
	ds_write_b64 v85, v[112:113]
	ds_write_b64 v85, v[96:97] offset:3840
	ds_write_b64 v81, v[116:117]
	ds_write_b64 v81, v[71:72] offset:3840
	;; [unrolled: 2-line block ×4, first 2 shown]
	ds_write2st64_b64 v114, v[157:158], v[161:162] offset0:15 offset1:17
	ds_write2_b64 v115, v[165:166], v[98:99] offset1:224
	ds_write2st64_b64 v43, v[100:101], v[102:103] offset0:25 offset1:27
	ds_write_b64 v17, v[167:168]
	ds_write_b64 v17, v[104:105] offset:3840
	ds_write_b64 v44, v[169:170] offset:15360
	;; [unrolled: 1-line block ×7, first 2 shown]
	ds_write_b64 v19, v[79:80]
	ds_write_b64 v19, v[77:78] offset:3840
	ds_write_b64 v127, v[177:178] offset:23040
	;; [unrolled: 1-line block ×7, first 2 shown]
	v_add_co_u32_e64 v19, s[0:1], s5, v53
	v_addc_co_u32_e64 v20, s[0:1], 0, v54, s[0:1]
	v_add_co_u32_e64 v67, s[0:1], s5, v55
	v_addc_co_u32_e64 v68, s[0:1], 0, v56, s[0:1]
	v_add_co_u32_e64 v71, s[0:1], s5, v94
	v_lshlrev_b64 v[75:76], 4, v[145:146]
	v_addc_co_u32_e64 v72, s[0:1], 0, v95, s[0:1]
	v_add_co_u32_e64 v44, s[0:1], s12, v75
	v_addc_co_u32_e64 v96, s[0:1], v18, v76, s[0:1]
	v_add_co_u32_e64 v75, s[0:1], s5, v44
	v_lshlrev_b64 v[77:78], 4, v[147:148]
	v_addc_co_u32_e64 v76, s[0:1], 0, v96, s[0:1]
	v_add_co_u32_e64 v97, s[0:1], s12, v77
	v_addc_co_u32_e64 v98, s[0:1], v18, v78, s[0:1]
	v_add_co_u32_e64 v79, s[0:1], s5, v97
	v_addc_co_u32_e64 v80, s[0:1], 0, v98, s[0:1]
	s_waitcnt lgkmcnt(0)
	s_barrier
	global_load_dwordx4 v[67:70], v[67:68], off offset:2912
	s_nop 0
	global_load_dwordx4 v[71:74], v[71:72], off offset:2912
	s_nop 0
	global_load_dwordx4 v[75:78], v[75:76], off offset:2912
	s_nop 0
	global_load_dwordx4 v[103:106], v[79:80], off offset:2912
	v_lshlrev_b64 v[79:80], 4, v[149:150]
	v_lshlrev_b64 v[101:102], 4, v[143:144]
	v_add_co_u32_e64 v99, s[0:1], s12, v79
	v_addc_co_u32_e64 v100, s[0:1], v18, v80, s[0:1]
	v_add_co_u32_e64 v79, s[0:1], s5, v99
	v_addc_co_u32_e64 v80, s[0:1], 0, v100, s[0:1]
	;; [unrolled: 2-line block ×4, first 2 shown]
	v_add_u32_e32 v17, 0xfffffc40, v128
	v_cmp_gt_u32_e64 s[0:1], s4, v128
	v_cndmask_b32_e64 v57, v17, v128, s[0:1]
	global_load_dwordx4 v[107:110], v[79:80], off offset:2912
	s_nop 0
	global_load_dwordx4 v[111:114], v[111:112], off offset:2912
	v_lshlrev_b64 v[79:80], 4, v[57:58]
	global_load_dwordx4 v[115:118], v[19:20], off offset:2912
	global_load_dwordx4 v[143:146], v[19:20], off offset:3936
	v_add_co_u32_e64 v17, s[0:1], s12, v79
	v_addc_co_u32_e64 v80, s[0:1], v18, v80, s[0:1]
	v_add_co_u32_e64 v79, s[0:1], s5, v17
	v_addc_co_u32_e64 v80, s[0:1], 0, v80, s[0:1]
	s_movk_i32 s0, 0x4000
	v_add_co_u32_e64 v19, s[0:1], s0, v53
	v_addc_co_u32_e64 v20, s[0:1], 0, v54, s[0:1]
	global_load_dwordx4 v[147:150], v[79:80], off offset:2912
	global_load_dwordx4 v[151:154], v[19:20], off offset:1888
	v_add_u32_e32 v19, 0x140, v0
	v_mov_b32_e32 v20, v58
	v_lshlrev_b64 v[19:20], 4, v[19:20]
	v_add_u32_e32 v79, 0x1c0, v0
	v_add_co_u32_e64 v17, s[0:1], s12, v19
	v_addc_co_u32_e64 v20, s[0:1], v18, v20, s[0:1]
	v_mov_b32_e32 v80, v58
	v_add_co_u32_e64 v19, s[0:1], s5, v17
	v_lshlrev_b64 v[79:80], 4, v[79:80]
	v_addc_co_u32_e64 v20, s[0:1], 0, v20, s[0:1]
	v_add_co_u32_e64 v17, s[0:1], s12, v79
	v_addc_co_u32_e64 v80, s[0:1], v18, v80, s[0:1]
	v_add_co_u32_e64 v79, s[0:1], s5, v17
	v_addc_co_u32_e64 v80, s[0:1], 0, v80, s[0:1]
	global_load_dwordx4 v[155:158], v[19:20], off offset:2912
	global_load_dwordx4 v[159:162], v[79:80], off offset:2912
	v_add_u32_e32 v19, 0x240, v0
	v_mov_b32_e32 v20, v58
	v_lshlrev_b64 v[19:20], 4, v[19:20]
	v_add_u32_e32 v79, 0x2c0, v0
	v_add_co_u32_e64 v17, s[0:1], s12, v19
	v_addc_co_u32_e64 v20, s[0:1], v18, v20, s[0:1]
	v_mov_b32_e32 v80, v58
	v_add_co_u32_e64 v19, s[0:1], s5, v17
	v_lshlrev_b64 v[79:80], 4, v[79:80]
	v_addc_co_u32_e64 v20, s[0:1], 0, v20, s[0:1]
	v_add_co_u32_e64 v17, s[0:1], s12, v79
	v_addc_co_u32_e64 v80, s[0:1], v18, v80, s[0:1]
	v_add_co_u32_e64 v79, s[0:1], s5, v17
	v_addc_co_u32_e64 v80, s[0:1], 0, v80, s[0:1]
	global_load_dwordx4 v[163:166], v[19:20], off offset:2912
	global_load_dwordx4 v[167:170], v[79:80], off offset:2912
	v_add_u32_e32 v19, 0x340, v0
	v_mov_b32_e32 v20, v58
	v_lshlrev_b64 v[19:20], 4, v[19:20]
	s_movk_i32 s4, 0xf00
	v_add_co_u32_e64 v17, s[0:1], s12, v19
	v_addc_co_u32_e64 v18, s[0:1], v18, v20, s[0:1]
	v_add_co_u32_e64 v17, s[0:1], s5, v17
	v_addc_co_u32_e64 v18, s[0:1], 0, v18, s[0:1]
	global_load_dwordx4 v[17:20], v[17:18], off offset:2912
	ds_read2st64_b64 v[171:174], v85 offset1:30
	ds_read2st64_b64 v[175:178], v85 offset0:32 offset1:34
	ds_read_b64 v[79:80], v81
	ds_read_b64 v[119:120], v82
	ds_read2st64_b64 v[179:182], v85 offset0:36 offset1:38
	ds_read_b64 v[213:214], v86
	ds_read2st64_b64 v[183:186], v85 offset0:40 offset1:42
	ds_read2st64_b64 v[187:190], v85 offset0:44 offset1:46
	ds_read_b64 v[215:216], v90
	ds_read_b64 v[217:218], v91
	;; [unrolled: 1-line block ×4, first 2 shown]
	ds_read2st64_b64 v[191:194], v85 offset0:48 offset1:50
	ds_read_b64 v[223:224], v89
	ds_read_b64 v[225:226], v88
	;; [unrolled: 1-line block ×3, first 2 shown]
	ds_read2st64_b64 v[195:198], v85 offset0:52 offset1:54
	ds_read2st64_b64 v[199:202], v85 offset0:56 offset1:58
	s_waitcnt vmcnt(14) lgkmcnt(14)
	v_mul_f64 v[231:232], v[175:176], v[69:70]
	v_mul_f64 v[69:70], v[29:30], v[69:70]
	ds_read_b64 v[233:234], v21
	ds_read_b64 v[235:236], v22
	;; [unrolled: 1-line block ×4, first 2 shown]
	s_movk_i32 s0, 0x3bf
	s_waitcnt vmcnt(8)
	v_mul_f64 v[229:230], v[173:174], v[117:118]
	v_mul_f64 v[117:118], v[27:28], v[117:118]
	v_cmp_lt_u32_e64 s[0:1], s0, v128
	s_waitcnt lgkmcnt(0)
	v_fma_f64 v[29:30], v[29:30], v[67:68], v[231:232]
	v_fma_f64 v[67:68], v[175:176], v[67:68], -v[69:70]
	v_mul_f64 v[69:70], v[177:178], v[73:74]
	v_mul_f64 v[73:74], v[31:32], v[73:74]
	v_fma_f64 v[27:28], v[27:28], v[115:116], v[229:230]
	v_fma_f64 v[115:116], v[173:174], v[115:116], -v[117:118]
	v_mul_f64 v[117:118], v[179:180], v[77:78]
	v_mul_f64 v[77:78], v[33:34], v[77:78]
	v_mul_f64 v[173:174], v[181:182], v[105:106]
	v_mul_f64 v[105:106], v[35:36], v[105:106]
	v_mul_f64 v[175:176], v[183:184], v[109:110]
	v_mul_f64 v[109:110], v[37:38], v[109:110]
	v_fma_f64 v[31:32], v[31:32], v[71:72], v[69:70]
	v_fma_f64 v[69:70], v[177:178], v[71:72], -v[73:74]
	v_fma_f64 v[33:34], v[33:34], v[75:76], v[117:118]
	v_fma_f64 v[71:72], v[179:180], v[75:76], -v[77:78]
	;; [unrolled: 2-line block ×3, first 2 shown]
	v_mul_f64 v[77:78], v[185:186], v[113:114]
	v_fma_f64 v[75:76], v[183:184], v[107:108], -v[109:110]
	v_mul_f64 v[103:104], v[39:40], v[113:114]
	s_waitcnt vmcnt(6)
	v_mul_f64 v[105:106], v[187:188], v[149:150]
	v_mul_f64 v[109:110], v[189:190], v[145:146]
	v_mul_f64 v[113:114], v[47:48], v[145:146]
	v_fma_f64 v[37:38], v[37:38], v[107:108], v[175:176]
	v_mul_f64 v[107:108], v[45:46], v[149:150]
	s_waitcnt vmcnt(5)
	v_mul_f64 v[145:146], v[49:50], v[153:154]
	v_mul_f64 v[117:118], v[191:192], v[153:154]
	v_fma_f64 v[39:40], v[39:40], v[111:112], v[77:78]
	v_fma_f64 v[45:46], v[45:46], v[147:148], v[105:106]
	;; [unrolled: 1-line block ×3, first 2 shown]
	v_fma_f64 v[105:106], v[189:190], v[143:144], -v[113:114]
	v_fma_f64 v[77:78], v[185:186], v[111:112], -v[103:104]
	s_waitcnt vmcnt(4)
	v_mul_f64 v[109:110], v[193:194], v[157:158]
	s_waitcnt vmcnt(3)
	v_mul_f64 v[113:114], v[195:196], v[161:162]
	v_fma_f64 v[103:104], v[187:188], v[147:148], -v[107:108]
	v_fma_f64 v[107:108], v[191:192], v[151:152], -v[145:146]
	v_fma_f64 v[49:50], v[49:50], v[151:152], v[117:118]
	v_mul_f64 v[111:112], v[51:52], v[157:158]
	v_mul_f64 v[117:118], v[59:60], v[161:162]
	v_add_f64 v[27:28], v[25:26], -v[27:28]
	v_fma_f64 v[51:52], v[51:52], v[155:156], v[109:110]
	v_fma_f64 v[59:60], v[59:60], v[159:160], v[113:114]
	v_add_f64 v[45:46], v[13:14], -v[45:46]
	v_add_f64 v[29:30], v[41:42], -v[29:30]
	;; [unrolled: 1-line block ×11, first 2 shown]
	v_fma_f64 v[13:14], v[13:14], 2.0, -v[45:46]
	v_fma_f64 v[11:12], v[11:12], 2.0, -v[47:48]
	s_waitcnt vmcnt(2)
	v_mul_f64 v[143:144], v[197:198], v[165:166]
	s_waitcnt vmcnt(1)
	v_mul_f64 v[147:148], v[199:200], v[169:170]
	v_mul_f64 v[145:146], v[61:62], v[165:166]
	;; [unrolled: 1-line block ×3, first 2 shown]
	v_fma_f64 v[9:10], v[9:10], 2.0, -v[49:50]
	v_fma_f64 v[15:16], v[15:16], 2.0, -v[51:52]
	;; [unrolled: 1-line block ×3, first 2 shown]
	v_add_f64 v[151:152], v[225:226], -v[71:72]
	v_fma_f64 v[61:62], v[61:62], v[163:164], v[143:144]
	v_fma_f64 v[63:64], v[63:64], v[167:168], v[147:148]
	v_fma_f64 v[113:114], v[197:198], v[163:164], -v[145:146]
	v_add_f64 v[145:146], v[79:80], -v[67:68]
	v_fma_f64 v[67:68], v[211:212], 2.0, -v[33:34]
	v_add_f64 v[147:148], v[119:120], -v[69:70]
	s_waitcnt vmcnt(0)
	v_mul_f64 v[143:144], v[201:202], v[19:20]
	v_mul_f64 v[19:20], v[65:66], v[19:20]
	v_add_f64 v[61:62], v[5:6], -v[61:62]
	v_add_f64 v[63:64], v[3:4], -v[63:64]
	v_fma_f64 v[69:70], v[209:210], 2.0, -v[35:36]
	v_fma_f64 v[71:72], v[205:206], 2.0, -v[37:38]
	v_add_f64 v[153:154], v[223:224], -v[73:74]
	v_fma_f64 v[73:74], v[207:208], 2.0, -v[39:40]
	v_fma_f64 v[65:66], v[65:66], v[17:18], v[143:144]
	v_fma_f64 v[17:18], v[201:202], v[17:18], -v[19:20]
	v_fma_f64 v[19:20], v[25:26], 2.0, -v[27:28]
	v_fma_f64 v[25:26], v[41:42], 2.0, -v[29:30]
	;; [unrolled: 1-line block ×5, first 2 shown]
	v_fma_f64 v[109:110], v[193:194], v[155:156], -v[111:112]
	v_add_f64 v[65:66], v[1:2], -v[65:66]
	v_add_f64 v[175:176], v[239:240], -v[17:18]
	v_mov_b32_e32 v17, 0x3c00
	v_cndmask_b32_e64 v17, 0, v17, s[0:1]
	v_lshlrev_b32_e32 v18, 3, v57
	v_add3_u32 v57, 0, v17, v18
	v_fma_f64 v[111:112], v[195:196], v[159:160], -v[117:118]
	v_fma_f64 v[117:118], v[199:200], v[167:168], -v[149:150]
	v_fma_f64 v[1:2], v[1:2], 2.0, -v[65:66]
	v_fma_f64 v[149:150], v[79:80], 2.0, -v[145:146]
	v_add_f64 v[155:156], v[213:214], -v[75:76]
	v_add_f64 v[157:158], v[215:216], -v[77:78]
	s_barrier
	ds_write2st64_b64 v85, v[19:20], v[27:28] offset1:15
	ds_write2st64_b64 v81, v[25:26], v[29:30] offset1:15
	;; [unrolled: 1-line block ×8, first 2 shown]
	ds_write2st64_b64 v43, v[11:12], v[9:10] offset0:31 offset1:33
	ds_write2st64_b64 v43, v[49:50], v[51:52] offset0:48 offset1:50
	;; [unrolled: 1-line block ×7, first 2 shown]
	s_waitcnt lgkmcnt(0)
	s_barrier
	ds_read2st64_b64 v[17:20], v85 offset1:30
	ds_read2st64_b64 v[25:28], v85 offset0:32 offset1:34
	ds_read_b64 v[59:60], v81
	ds_read_b64 v[61:62], v82
	ds_read2st64_b64 v[29:32], v85 offset0:36 offset1:38
	ds_read_b64 v[65:66], v86
	ds_read2st64_b64 v[37:40], v85 offset0:40 offset1:42
	ds_read2st64_b64 v[45:48], v85 offset0:44 offset1:46
	ds_read_b64 v[69:70], v90
	ds_read_b64 v[71:72], v91
	ds_read_b64 v[73:74], v92
	ds_read_b64 v[75:76], v93
	ds_read2st64_b64 v[49:52], v85 offset0:48 offset1:50
	ds_read_b64 v[67:68], v89
	ds_read_b64 v[63:64], v88
	;; [unrolled: 1-line block ×3, first 2 shown]
	ds_read2st64_b64 v[33:36], v85 offset0:52 offset1:54
	ds_read2st64_b64 v[9:12], v85 offset0:56 offset1:58
	ds_read_b64 v[79:80], v21
	ds_read_b64 v[41:42], v22
	;; [unrolled: 1-line block ×4, first 2 shown]
	v_add_f64 v[115:116], v[171:172], -v[115:116]
	v_add_f64 v[103:104], v[217:218], -v[103:104]
	;; [unrolled: 1-line block ×8, first 2 shown]
	v_fma_f64 v[143:144], v[171:172], 2.0, -v[115:116]
	v_fma_f64 v[119:120], v[119:120], 2.0, -v[147:148]
	;; [unrolled: 1-line block ×14, first 2 shown]
	s_waitcnt lgkmcnt(0)
	s_barrier
	ds_write2st64_b64 v85, v[143:144], v[115:116] offset1:15
	ds_write2st64_b64 v81, v[149:150], v[145:146] offset1:15
	;; [unrolled: 1-line block ×8, first 2 shown]
	ds_write2st64_b64 v43, v[169:170], v[171:172] offset0:31 offset1:33
	ds_write2st64_b64 v43, v[107:108], v[109:110] offset0:48 offset1:50
	;; [unrolled: 1-line block ×7, first 2 shown]
	s_waitcnt lgkmcnt(0)
	s_barrier
	s_and_saveexec_b64 s[0:1], vcc
	s_cbranch_execz .LBB0_15
; %bb.14:
	v_mov_b32_e32 v143, v58
	v_lshlrev_b64 v[1:2], 4, v[142:143]
	v_mov_b32_e32 v43, s13
	v_add_co_u32_e32 v1, vcc, s12, v1
	v_addc_co_u32_e32 v2, vcc, v43, v2, vcc
	v_add_co_u32_e32 v1, vcc, 0x7000, v1
	v_addc_co_u32_e32 v2, vcc, 0, v2, vcc
	global_load_dwordx4 v[1:4], v[1:2], off offset:1888
	v_mov_b32_e32 v137, v58
	v_lshlrev_b64 v[7:8], 4, v[136:137]
	s_movk_i32 s0, 0x7000
	v_add_co_u32_e32 v7, vcc, s12, v7
	v_addc_co_u32_e32 v8, vcc, v43, v8, vcc
	v_add_co_u32_e32 v7, vcc, s0, v7
	v_addc_co_u32_e32 v8, vcc, 0, v8, vcc
	global_load_dwordx4 v[103:106], v[7:8], off offset:1888
	v_mov_b32_e32 v130, v58
	v_lshlrev_b64 v[7:8], 4, v[129:130]
	v_mov_b32_e32 v139, v58
	v_add_co_u32_e32 v7, vcc, s12, v7
	v_addc_co_u32_e32 v8, vcc, v43, v8, vcc
	v_add_co_u32_e32 v7, vcc, s0, v7
	v_addc_co_u32_e32 v8, vcc, 0, v8, vcc
	global_load_dwordx4 v[107:110], v[7:8], off offset:1888
	v_lshlrev_b64 v[7:8], 4, v[138:139]
	v_mov_b32_e32 v132, v58
	v_add_co_u32_e32 v7, vcc, s12, v7
	v_addc_co_u32_e32 v8, vcc, v43, v8, vcc
	v_add_co_u32_e32 v7, vcc, s0, v7
	v_addc_co_u32_e32 v8, vcc, 0, v8, vcc
	global_load_dwordx4 v[111:114], v[7:8], off offset:1888
	v_lshlrev_b64 v[7:8], 4, v[131:132]
	v_mov_b32_e32 v127, v58
	v_lshlrev_b64 v[15:16], 4, v[126:127]
	v_add_co_u32_e32 v7, vcc, s12, v7
	v_addc_co_u32_e32 v8, vcc, v43, v8, vcc
	v_add_co_u32_e32 v15, vcc, s12, v15
	v_addc_co_u32_e32 v16, vcc, v43, v16, vcc
	;; [unrolled: 2-line block ×3, first 2 shown]
	v_add_co_u32_e32 v15, vcc, s0, v15
	v_mul_lo_u32 v145, s3, v124
	v_mul_lo_u32 v146, s2, v125
	v_mad_u64_u32 v[81:82], s[2:3], s2, v124, 0
	ds_read2st64_b64 v[115:118], v85 offset0:56 offset1:58
	v_addc_co_u32_e32 v16, vcc, 0, v16, vcc
	global_load_dwordx4 v[124:127], v[7:8], off offset:1888
	global_load_dwordx4 v[135:138], v[15:16], off offset:1888
	v_mul_i32_i24_e32 v121, 0xffffffb8, v134
	v_mov_b32_e32 v134, v58
	v_mul_i32_i24_e32 v57, 0xffffffb8, v140
	ds_read_b64 v[7:8], v24
	ds_read_b64 v[15:16], v23
	;; [unrolled: 1-line block ×3, first 2 shown]
	ds_read2st64_b64 v[139:142], v85 offset0:52 offset1:54
	v_lshlrev_b64 v[22:23], 4, v[133:134]
	v_mov_b32_e32 v129, v58
	v_add_co_u32_e32 v24, vcc, s12, v22
	v_addc_co_u32_e32 v132, vcc, v43, v23, vcc
	v_lshlrev_b64 v[128:129], 4, v[128:129]
	v_add3_u32 v82, v82, v146, v145
	v_add_u32_e32 v84, v84, v121
	s_mov_b32 s1, 0x88888889
	s_waitcnt vmcnt(5)
	v_mul_f64 v[119:120], v[11:12], v[3:4]
	s_waitcnt lgkmcnt(4)
	v_mul_f64 v[3:4], v[117:118], v[3:4]
	v_fma_f64 v[130:131], v[1:2], v[117:118], -v[119:120]
	v_add_co_u32_e32 v117, vcc, s0, v24
	v_addc_co_u32_e32 v118, vcc, 0, v132, vcc
	global_load_dwordx4 v[117:120], v[117:118], off offset:1888
	s_waitcnt vmcnt(5)
	v_mul_f64 v[22:23], v[9:10], v[105:106]
	v_add_co_u32_e32 v24, vcc, s12, v128
	v_addc_co_u32_e32 v43, vcc, v43, v129, vcc
	v_fma_f64 v[1:2], v[11:12], v[1:2], v[3:4]
	v_mul_f64 v[105:106], v[115:116], v[105:106]
	s_waitcnt lgkmcnt(3)
	v_add_f64 v[3:4], v[7:8], -v[130:131]
	v_fma_f64 v[11:12], v[103:104], v[115:116], -v[22:23]
	v_add_co_u32_e32 v115, vcc, s0, v24
	v_addc_co_u32_e32 v116, vcc, 0, v43, vcc
	global_load_dwordx4 v[128:131], v[115:116], off offset:1888
	s_waitcnt vmcnt(5)
	v_mul_f64 v[22:23], v[35:36], v[109:110]
	s_waitcnt lgkmcnt(0)
	v_mul_f64 v[109:110], v[141:142], v[109:110]
	v_add_co_u32_e32 v101, vcc, s0, v101
	v_addc_co_u32_e32 v102, vcc, 0, v102, vcc
	v_add_co_u32_e32 v99, vcc, s0, v99
	v_addc_co_u32_e32 v100, vcc, 0, v100, vcc
	v_fma_f64 v[35:36], v[35:36], v[107:108], v[109:110]
	s_waitcnt vmcnt(4)
	v_mul_f64 v[109:110], v[33:34], v[113:114]
	v_mul_f64 v[113:114], v[139:140], v[113:114]
	v_add_co_u32_e32 v97, vcc, s0, v97
	v_addc_co_u32_e32 v98, vcc, 0, v98, vcc
	v_fma_f64 v[9:10], v[9:10], v[103:104], v[105:106]
	v_fma_f64 v[22:23], v[107:108], v[141:142], -v[22:23]
	global_load_dwordx4 v[105:108], v[99:100], off offset:1888
	v_fma_f64 v[141:142], v[33:34], v[111:112], v[113:114]
	global_load_dwordx4 v[101:104], v[101:102], off offset:1888
	v_add_co_u32_e32 v33, vcc, s0, v44
	global_load_dwordx4 v[97:100], v[97:98], off offset:1888
	v_addc_co_u32_e32 v34, vcc, 0, v96, vcc
	v_fma_f64 v[139:140], v[111:112], v[139:140], -v[109:110]
	global_load_dwordx4 v[109:112], v[33:34], off offset:1888
	ds_read_b64 v[132:133], v21
	v_add_f64 v[23:24], v[143:144], -v[22:23]
	v_add_f64 v[21:22], v[41:42], -v[35:36]
	v_add_co_u32_e32 v94, vcc, s0, v94
	ds_read2st64_b64 v[113:116], v85 offset0:48 offset1:50
	v_addc_co_u32_e32 v95, vcc, 0, v95, vcc
	v_add_co_u32_e32 v55, vcc, s0, v55
	v_addc_co_u32_e32 v56, vcc, 0, v56, vcc
	v_add_co_u32_e32 v53, vcc, s0, v53
	v_addc_co_u32_e32 v54, vcc, 0, v54, vcc
	global_load_dwordx4 v[145:148], v[53:54], off offset:1888
	v_fma_f64 v[35:36], v[143:144], 2.0, -v[23:24]
	v_fma_f64 v[33:34], v[41:42], 2.0, -v[21:22]
	s_waitcnt lgkmcnt(1)
	v_add_f64 v[43:44], v[132:133], -v[139:140]
	v_add_f64 v[41:42], v[79:80], -v[141:142]
	s_waitcnt vmcnt(7)
	v_mul_f64 v[153:154], v[49:50], v[137:138]
	s_waitcnt lgkmcnt(0)
	v_mul_f64 v[155:156], v[113:114], v[137:138]
	global_load_dwordx4 v[137:140], v[94:95], off offset:1888
	global_load_dwordx4 v[141:144], v[55:56], off offset:1888
	v_mul_f64 v[149:150], v[51:52], v[126:127]
	v_mul_f64 v[126:127], v[115:116], v[126:127]
	v_fma_f64 v[55:56], v[132:133], 2.0, -v[43:44]
	v_fma_f64 v[53:54], v[79:80], 2.0, -v[41:42]
	ds_read_b64 v[79:80], v87
	v_fma_f64 v[113:114], v[135:136], v[113:114], -v[153:154]
	v_add_f64 v[11:12], v[15:16], -v[11:12]
	v_add_f64 v[9:10], v[13:14], -v[9:10]
	v_fma_f64 v[94:95], v[124:125], v[115:116], -v[149:150]
	ds_read2st64_b64 v[149:152], v85 offset0:44 offset1:46
	v_fma_f64 v[115:116], v[51:52], v[124:125], v[126:127]
	s_waitcnt vmcnt(8)
	v_mul_f64 v[126:127], v[47:48], v[119:120]
	v_fma_f64 v[124:125], v[49:50], v[135:136], v[155:156]
	ds_read_b64 v[132:133], v89
	ds_read_b64 v[134:135], v88
	;; [unrolled: 1-line block ×3, first 2 shown]
	s_waitcnt lgkmcnt(3)
	v_mul_f64 v[119:120], v[151:152], v[119:120]
	v_fma_f64 v[15:16], v[15:16], 2.0, -v[11:12]
	v_add_f64 v[51:52], v[79:80], -v[94:95]
	ds_read_b64 v[95:96], v93
	v_add_f64 v[49:50], v[77:78], -v[115:116]
	ds_read_b64 v[115:116], v92
	v_fma_f64 v[93:94], v[117:118], v[151:152], -v[126:127]
	v_add_f64 v[86:87], v[75:76], -v[124:125]
	v_fma_f64 v[47:48], v[47:48], v[117:118], v[119:120]
	s_waitcnt lgkmcnt(1)
	v_add_f64 v[88:89], v[95:96], -v[113:114]
	v_fma_f64 v[79:80], v[79:80], 2.0, -v[51:52]
	s_waitcnt vmcnt(7)
	v_mul_f64 v[113:114], v[45:46], v[130:131]
	v_mul_f64 v[117:118], v[149:150], v[130:131]
	ds_read_b64 v[130:131], v91
	s_waitcnt lgkmcnt(1)
	v_add_f64 v[93:94], v[115:116], -v[93:94]
	v_fma_f64 v[77:78], v[77:78], 2.0, -v[49:50]
	v_add_f64 v[91:92], v[73:74], -v[47:48]
	v_fma_f64 v[47:48], v[95:96], 2.0, -v[88:89]
	v_fma_f64 v[13:14], v[13:14], 2.0, -v[9:10]
	v_fma_f64 v[95:96], v[128:129], v[149:150], -v[113:114]
	v_fma_f64 v[117:118], v[45:46], v[128:129], v[117:118]
	v_fma_f64 v[45:46], v[75:76], 2.0, -v[86:87]
	v_fma_f64 v[75:76], v[115:116], 2.0, -v[93:94]
	ds_read2st64_b64 v[113:116], v85 offset0:40 offset1:42
	ds_read_b64 v[149:150], v90
	ds_read2st64_b64 v[124:127], v85 offset0:36 offset1:38
	v_fma_f64 v[73:74], v[73:74], 2.0, -v[91:92]
	v_add_f64 v[1:2], v[5:6], -v[1:2]
	s_waitcnt lgkmcnt(3)
	v_add_f64 v[119:120], v[130:131], -v[95:96]
	v_add_f64 v[117:118], v[71:72], -v[117:118]
	v_fma_f64 v[7:8], v[7:8], 2.0, -v[3:4]
	s_waitcnt vmcnt(5)
	v_mul_f64 v[128:129], v[39:40], v[103:104]
	s_waitcnt lgkmcnt(2)
	v_mul_f64 v[95:96], v[115:116], v[103:104]
	v_mul_f64 v[103:104], v[37:38], v[107:108]
	;; [unrolled: 1-line block ×3, first 2 shown]
	s_waitcnt vmcnt(4)
	v_mul_f64 v[151:152], v[31:32], v[99:100]
	s_waitcnt lgkmcnt(0)
	v_mul_f64 v[99:100], v[126:127], v[99:100]
	v_fma_f64 v[130:131], v[130:131], 2.0, -v[119:120]
	v_fma_f64 v[5:6], v[5:6], 2.0, -v[1:2]
	v_fma_f64 v[115:116], v[101:102], v[115:116], -v[128:129]
	v_fma_f64 v[128:129], v[71:72], 2.0, -v[117:118]
	v_fma_f64 v[71:72], v[39:40], v[101:102], v[95:96]
	v_fma_f64 v[95:96], v[105:106], v[113:114], -v[103:104]
	v_fma_f64 v[101:102], v[37:38], v[105:106], v[107:108]
	v_fma_f64 v[99:100], v[31:32], v[97:98], v[99:100]
	s_waitcnt vmcnt(3)
	v_mul_f64 v[105:106], v[29:30], v[111:112]
	v_mul_f64 v[107:108], v[124:125], v[111:112]
	v_fma_f64 v[103:104], v[97:98], v[126:127], -v[151:152]
	v_add_f64 v[39:40], v[149:150], -v[115:116]
	v_add_f64 v[37:38], v[69:70], -v[71:72]
	;; [unrolled: 1-line block ×5, first 2 shown]
	v_fma_f64 v[111:112], v[109:110], v[124:125], -v[105:106]
	v_fma_f64 v[113:114], v[29:30], v[109:110], v[107:108]
	v_add_f64 v[101:102], v[132:133], -v[103:104]
	ds_read2st64_b64 v[107:110], v85 offset0:32 offset1:34
	v_fma_f64 v[29:30], v[69:70], 2.0, -v[37:38]
	v_fma_f64 v[71:72], v[153:154], 2.0, -v[97:98]
	;; [unrolled: 1-line block ×4, first 2 shown]
	v_add_f64 v[67:68], v[134:135], -v[111:112]
	v_add_f64 v[65:66], v[63:64], -v[113:114]
	ds_read2st64_b64 v[111:114], v85 offset1:30
	v_fma_f64 v[105:106], v[132:133], 2.0, -v[101:102]
	s_waitcnt vmcnt(1)
	v_mul_f64 v[115:116], v[27:28], v[139:140]
	s_waitcnt lgkmcnt(1)
	v_mul_f64 v[124:125], v[109:110], v[139:140]
	s_waitcnt vmcnt(0)
	v_mul_f64 v[126:127], v[25:26], v[143:144]
	v_mul_f64 v[132:133], v[107:108], v[143:144]
	;; [unrolled: 1-line block ×3, first 2 shown]
	s_waitcnt lgkmcnt(0)
	v_mul_f64 v[143:144], v[113:114], v[147:148]
	ds_read_b64 v[84:85], v84
	v_fma_f64 v[31:32], v[149:150], 2.0, -v[39:40]
	v_fma_f64 v[109:110], v[137:138], v[109:110], -v[115:116]
	v_fma_f64 v[115:116], v[27:28], v[137:138], v[124:125]
	v_fma_f64 v[107:108], v[141:142], v[107:108], -v[126:127]
	v_fma_f64 v[124:125], v[25:26], v[141:142], v[132:133]
	;; [unrolled: 2-line block ×3, first 2 shown]
	v_add_u32_e32 v27, v83, v57
	ds_read_b64 v[136:137], v27
	s_waitcnt lgkmcnt(1)
	v_add_f64 v[27:28], v[84:85], -v[109:110]
	v_mul_hi_u32 v57, v0, s1
	v_add_f64 v[25:26], v[61:62], -v[115:116]
	v_fma_f64 v[115:116], v[134:135], 2.0, -v[67:68]
	s_waitcnt lgkmcnt(0)
	v_add_f64 v[109:110], v[136:137], -v[107:108]
	v_add_f64 v[107:108], v[59:60], -v[124:125]
	;; [unrolled: 1-line block ×4, first 2 shown]
	v_lshrrev_b32_e32 v57, 10, v57
	v_mul_u32_u24_e32 v57, 0x780, v57
	v_sub_u32_e32 v57, v0, v57
	v_lshlrev_b32_e32 v57, 4, v57
	v_fma_f64 v[134:135], v[136:137], 2.0, -v[109:110]
	v_fma_f64 v[132:133], v[59:60], 2.0, -v[107:108]
	v_lshlrev_b64 v[59:60], 4, v[81:82]
	v_fma_f64 v[19:20], v[111:112], 2.0, -v[126:127]
	v_fma_f64 v[17:18], v[17:18], 2.0, -v[124:125]
	v_mov_b32_e32 v81, s11
	v_add_co_u32_e32 v82, vcc, s10, v59
	v_addc_co_u32_e32 v81, vcc, v81, v60, vcc
	v_lshlrev_b64 v[59:60], 4, v[122:123]
	v_fma_f64 v[113:114], v[63:64], 2.0, -v[65:66]
	v_add_co_u32_e32 v82, vcc, v82, v59
	v_addc_co_u32_e32 v81, vcc, v81, v60, vcc
	v_add_co_u32_e32 v59, vcc, v82, v57
	v_addc_co_u32_e32 v60, vcc, 0, v81, vcc
	global_store_dwordx4 v[59:60], v[17:20], off
	v_fma_f64 v[63:64], v[84:85], 2.0, -v[27:28]
	v_add_u32_e32 v19, 0x80, v0
	v_mul_hi_u32 v20, v19, s1
	v_add_co_u32_e32 v17, vcc, s0, v59
	v_addc_co_u32_e32 v18, vcc, 0, v60, vcc
	global_store_dwordx4 v[17:18], v[124:127], off offset:2048
	v_lshrrev_b32_e32 v17, 10, v20
	v_mul_u32_u24_e32 v18, 0x780, v17
	v_sub_u32_e32 v18, v19, v18
	v_mad_u32_u24 v57, v17, s4, v18
	v_lshlrev_b64 v[17:18], 4, v[57:58]
	v_add_u32_e32 v57, 0x780, v57
	v_add_co_u32_e32 v17, vcc, v82, v17
	v_addc_co_u32_e32 v18, vcc, v81, v18, vcc
	v_add_u32_e32 v19, 0x100, v0
	global_store_dwordx4 v[17:18], v[132:135], off
	v_lshlrev_b64 v[17:18], 4, v[57:58]
	v_mul_hi_u32 v20, v19, s1
	v_add_co_u32_e32 v17, vcc, v82, v17
	v_addc_co_u32_e32 v18, vcc, v81, v18, vcc
	v_fma_f64 v[61:62], v[61:62], 2.0, -v[25:26]
	global_store_dwordx4 v[17:18], v[107:110], off
	v_lshrrev_b32_e32 v17, 10, v20
	v_mul_u32_u24_e32 v18, 0x780, v17
	v_sub_u32_e32 v18, v19, v18
	v_mad_u32_u24 v57, v17, s4, v18
	v_lshlrev_b64 v[17:18], 4, v[57:58]
	v_add_u32_e32 v57, 0x780, v57
	v_add_co_u32_e32 v17, vcc, v82, v17
	v_addc_co_u32_e32 v18, vcc, v81, v18, vcc
	v_add_u32_e32 v19, 0x180, v0
	global_store_dwordx4 v[17:18], v[61:64], off
	v_lshlrev_b64 v[17:18], 4, v[57:58]
	v_mul_hi_u32 v20, v19, s1
	v_add_co_u32_e32 v17, vcc, v82, v17
	v_addc_co_u32_e32 v18, vcc, v81, v18, vcc
	global_store_dwordx4 v[17:18], v[25:28], off
	v_lshrrev_b32_e32 v17, 10, v20
	v_mul_u32_u24_e32 v18, 0x780, v17
	v_sub_u32_e32 v18, v19, v18
	v_mad_u32_u24 v57, v17, s4, v18
	v_lshlrev_b64 v[17:18], 4, v[57:58]
	v_add_u32_e32 v57, 0x780, v57
	v_add_co_u32_e32 v17, vcc, v82, v17
	v_addc_co_u32_e32 v18, vcc, v81, v18, vcc
	v_add_u32_e32 v19, 0x200, v0
	global_store_dwordx4 v[17:18], v[113:116], off
	v_lshlrev_b64 v[17:18], 4, v[57:58]
	v_mul_hi_u32 v20, v19, s1
	v_add_co_u32_e32 v17, vcc, v82, v17
	v_addc_co_u32_e32 v18, vcc, v81, v18, vcc
	;; [unrolled: 15-line block ×11, first 2 shown]
	global_store_dwordx4 v[17:18], v[21:24], off
	v_lshrrev_b32_e32 v17, 10, v20
	v_mul_u32_u24_e32 v18, 0x780, v17
	v_sub_u32_e32 v18, v19, v18
	v_mad_u32_u24 v57, v17, s4, v18
	v_lshlrev_b64 v[17:18], 4, v[57:58]
	v_add_u32_e32 v57, 0x780, v57
	v_add_co_u32_e32 v17, vcc, v82, v17
	v_addc_co_u32_e32 v18, vcc, v81, v18, vcc
	v_add_u32_e32 v0, 0x700, v0
	global_store_dwordx4 v[17:18], v[13:16], off
	s_nop 0
	v_lshlrev_b64 v[13:14], 4, v[57:58]
	v_mul_hi_u32 v15, v0, s1
	v_add_co_u32_e32 v13, vcc, v82, v13
	v_addc_co_u32_e32 v14, vcc, v81, v14, vcc
	global_store_dwordx4 v[13:14], v[9:12], off
	s_nop 0
	v_lshrrev_b32_e32 v9, 10, v15
	v_mul_u32_u24_e32 v10, 0x780, v9
	v_sub_u32_e32 v0, v0, v10
	v_mad_u32_u24 v57, v9, s4, v0
	v_lshlrev_b64 v[9:10], 4, v[57:58]
	v_add_u32_e32 v57, 0x780, v57
	v_add_co_u32_e32 v9, vcc, v82, v9
	v_addc_co_u32_e32 v10, vcc, v81, v10, vcc
	global_store_dwordx4 v[9:10], v[5:8], off
	s_nop 0
	v_lshlrev_b64 v[5:6], 4, v[57:58]
	v_add_co_u32_e32 v5, vcc, v82, v5
	v_addc_co_u32_e32 v6, vcc, v81, v6, vcc
	global_store_dwordx4 v[5:6], v[1:4], off
.LBB0_15:
	s_endpgm
	.section	.rodata,"a",@progbits
	.p2align	6, 0x0
	.amdhsa_kernel fft_rtc_back_len3840_factors_10_6_2_2_2_2_2_2_wgs_128_tpt_128_halfLds_dp_op_CI_CI_unitstride_sbrr_dirReg
		.amdhsa_group_segment_fixed_size 0
		.amdhsa_private_segment_fixed_size 0
		.amdhsa_kernarg_size 104
		.amdhsa_user_sgpr_count 6
		.amdhsa_user_sgpr_private_segment_buffer 1
		.amdhsa_user_sgpr_dispatch_ptr 0
		.amdhsa_user_sgpr_queue_ptr 0
		.amdhsa_user_sgpr_kernarg_segment_ptr 1
		.amdhsa_user_sgpr_dispatch_id 0
		.amdhsa_user_sgpr_flat_scratch_init 0
		.amdhsa_user_sgpr_private_segment_size 0
		.amdhsa_uses_dynamic_stack 0
		.amdhsa_system_sgpr_private_segment_wavefront_offset 0
		.amdhsa_system_sgpr_workgroup_id_x 1
		.amdhsa_system_sgpr_workgroup_id_y 0
		.amdhsa_system_sgpr_workgroup_id_z 0
		.amdhsa_system_sgpr_workgroup_info 0
		.amdhsa_system_vgpr_workitem_id 0
		.amdhsa_next_free_vgpr 245
		.amdhsa_next_free_sgpr 28
		.amdhsa_reserve_vcc 1
		.amdhsa_reserve_flat_scratch 0
		.amdhsa_float_round_mode_32 0
		.amdhsa_float_round_mode_16_64 0
		.amdhsa_float_denorm_mode_32 3
		.amdhsa_float_denorm_mode_16_64 3
		.amdhsa_dx10_clamp 1
		.amdhsa_ieee_mode 1
		.amdhsa_fp16_overflow 0
		.amdhsa_exception_fp_ieee_invalid_op 0
		.amdhsa_exception_fp_denorm_src 0
		.amdhsa_exception_fp_ieee_div_zero 0
		.amdhsa_exception_fp_ieee_overflow 0
		.amdhsa_exception_fp_ieee_underflow 0
		.amdhsa_exception_fp_ieee_inexact 0
		.amdhsa_exception_int_div_zero 0
	.end_amdhsa_kernel
	.text
.Lfunc_end0:
	.size	fft_rtc_back_len3840_factors_10_6_2_2_2_2_2_2_wgs_128_tpt_128_halfLds_dp_op_CI_CI_unitstride_sbrr_dirReg, .Lfunc_end0-fft_rtc_back_len3840_factors_10_6_2_2_2_2_2_2_wgs_128_tpt_128_halfLds_dp_op_CI_CI_unitstride_sbrr_dirReg
                                        ; -- End function
	.section	.AMDGPU.csdata,"",@progbits
; Kernel info:
; codeLenInByte = 26132
; NumSgprs: 32
; NumVgprs: 245
; ScratchSize: 0
; MemoryBound: 1
; FloatMode: 240
; IeeeMode: 1
; LDSByteSize: 0 bytes/workgroup (compile time only)
; SGPRBlocks: 3
; VGPRBlocks: 61
; NumSGPRsForWavesPerEU: 32
; NumVGPRsForWavesPerEU: 245
; Occupancy: 1
; WaveLimiterHint : 1
; COMPUTE_PGM_RSRC2:SCRATCH_EN: 0
; COMPUTE_PGM_RSRC2:USER_SGPR: 6
; COMPUTE_PGM_RSRC2:TRAP_HANDLER: 0
; COMPUTE_PGM_RSRC2:TGID_X_EN: 1
; COMPUTE_PGM_RSRC2:TGID_Y_EN: 0
; COMPUTE_PGM_RSRC2:TGID_Z_EN: 0
; COMPUTE_PGM_RSRC2:TIDIG_COMP_CNT: 0
	.type	__hip_cuid_d7a66b9054e456cd,@object ; @__hip_cuid_d7a66b9054e456cd
	.section	.bss,"aw",@nobits
	.globl	__hip_cuid_d7a66b9054e456cd
__hip_cuid_d7a66b9054e456cd:
	.byte	0                               ; 0x0
	.size	__hip_cuid_d7a66b9054e456cd, 1

	.ident	"AMD clang version 19.0.0git (https://github.com/RadeonOpenCompute/llvm-project roc-6.4.0 25133 c7fe45cf4b819c5991fe208aaa96edf142730f1d)"
	.section	".note.GNU-stack","",@progbits
	.addrsig
	.addrsig_sym __hip_cuid_d7a66b9054e456cd
	.amdgpu_metadata
---
amdhsa.kernels:
  - .args:
      - .actual_access:  read_only
        .address_space:  global
        .offset:         0
        .size:           8
        .value_kind:     global_buffer
      - .offset:         8
        .size:           8
        .value_kind:     by_value
      - .actual_access:  read_only
        .address_space:  global
        .offset:         16
        .size:           8
        .value_kind:     global_buffer
      - .actual_access:  read_only
        .address_space:  global
        .offset:         24
        .size:           8
        .value_kind:     global_buffer
      - .actual_access:  read_only
        .address_space:  global
        .offset:         32
        .size:           8
        .value_kind:     global_buffer
      - .offset:         40
        .size:           8
        .value_kind:     by_value
      - .actual_access:  read_only
        .address_space:  global
        .offset:         48
        .size:           8
        .value_kind:     global_buffer
      - .actual_access:  read_only
        .address_space:  global
        .offset:         56
        .size:           8
        .value_kind:     global_buffer
      - .offset:         64
        .size:           4
        .value_kind:     by_value
      - .actual_access:  read_only
        .address_space:  global
        .offset:         72
        .size:           8
        .value_kind:     global_buffer
      - .actual_access:  read_only
        .address_space:  global
        .offset:         80
        .size:           8
        .value_kind:     global_buffer
      - .actual_access:  read_only
        .address_space:  global
        .offset:         88
        .size:           8
        .value_kind:     global_buffer
      - .actual_access:  write_only
        .address_space:  global
        .offset:         96
        .size:           8
        .value_kind:     global_buffer
    .group_segment_fixed_size: 0
    .kernarg_segment_align: 8
    .kernarg_segment_size: 104
    .language:       OpenCL C
    .language_version:
      - 2
      - 0
    .max_flat_workgroup_size: 128
    .name:           fft_rtc_back_len3840_factors_10_6_2_2_2_2_2_2_wgs_128_tpt_128_halfLds_dp_op_CI_CI_unitstride_sbrr_dirReg
    .private_segment_fixed_size: 0
    .sgpr_count:     32
    .sgpr_spill_count: 0
    .symbol:         fft_rtc_back_len3840_factors_10_6_2_2_2_2_2_2_wgs_128_tpt_128_halfLds_dp_op_CI_CI_unitstride_sbrr_dirReg.kd
    .uniform_work_group_size: 1
    .uses_dynamic_stack: false
    .vgpr_count:     245
    .vgpr_spill_count: 0
    .wavefront_size: 64
amdhsa.target:   amdgcn-amd-amdhsa--gfx906
amdhsa.version:
  - 1
  - 2
...

	.end_amdgpu_metadata
